;; amdgpu-corpus repo=zjin-lcf/HeCBench kind=compiled arch=gfx950 opt=O3
	.amdgcn_target "amdgcn-amd-amdhsa--gfx950"
	.amdhsa_code_object_version 6
	.text
	.p2align	2                               ; -- Begin function _Z15cuda_rys_pbf_dpPKdS0_S0_S0_
	.type	_Z15cuda_rys_pbf_dpPKdS0_S0_S0_,@function
_Z15cuda_rys_pbf_dpPKdS0_S0_S0_:        ; @_Z15cuda_rys_pbf_dpPKdS0_S0_S0_
; %bb.0:
	s_waitcnt vmcnt(0) expcnt(0) lgkmcnt(0)
	s_mov_b32 s0, s33
	s_mov_b32 s33, s32
	s_or_saveexec_b64 s[2:3], -1
	scratch_store_dword off, v63, s33 offset:1140 ; 4-byte Folded Spill
	scratch_store_dword off, v61, s33 offset:1144 ; 4-byte Folded Spill
	;; [unrolled: 1-line block ×3, first 2 shown]
	s_mov_b64 exec, s[2:3]
	v_writelane_b32 v63, s0, 36
	s_addk_i32 s32, 0x490
	scratch_store_dword off, v40, s33 offset:176 ; 4-byte Folded Spill
	scratch_store_dword off, v41, s33 offset:172 ; 4-byte Folded Spill
	;; [unrolled: 1-line block ×44, first 2 shown]
	scratch_store_dword off, a63, s33       ; 4-byte Folded Spill
	v_writelane_b32 v63, s34, 0
	v_writelane_b32 v63, s35, 1
	;; [unrolled: 1-line block ×35, first 2 shown]
	s_nop 1
	v_writelane_b32 v63, s31, 35
	scratch_store_dword off, v31, s33 offset:768 ; 4-byte Folded Spill
	v_mov_b32_e32 v17, v7
	v_mov_b32_e32 v16, v6
	;; [unrolled: 1-line block ×8, first 2 shown]
	flat_load_dwordx4 v[20:23], v[2:3] offset:48
	flat_load_dwordx4 v[24:27], v[4:5] offset:48
	flat_load_dwordx4 v[28:31], v[4:5]
	flat_load_dwordx4 v[12:15], v[4:5] offset:16
	flat_load_dwordx4 v[8:11], v[2:3]
	flat_load_dwordx4 v[32:35], v[2:3] offset:16
	s_mov_b32 s98, s15
	s_mov_b32 s68, s14
	s_mov_b32 s99, s13
	s_mov_b32 s69, s12
	s_mov_b64 s[78:79], s[10:11]
	s_mov_b64 s[88:89], s[8:9]
	;; [unrolled: 1-line block ×4, first 2 shown]
	s_waitcnt vmcnt(0) lgkmcnt(0)
	scratch_store_dwordx4 off, v[20:23], s33 offset:1084 ; 16-byte Folded Spill
	v_add_f64 v[58:59], v[20:21], v[24:25]
	v_mul_f64 v[48:49], v[28:29], v[24:25]
	v_mul_f64 v[50:51], v[30:31], v[24:25]
	v_accvgpr_write_b32 a12, v12
	v_fmac_f64_e32 v[48:49], v[8:9], v[20:21]
	v_accvgpr_write_b32 a8, v28
	v_mul_f64 v[52:53], v[12:13], v[24:25]
	v_accvgpr_write_b32 a13, v13
	v_accvgpr_write_b32 a14, v14
	;; [unrolled: 1-line block ×3, first 2 shown]
	v_fmac_f64_e32 v[50:51], v[10:11], v[20:21]
	v_div_scale_f64 v[12:13], s[0:1], v[58:59], v[58:59], v[48:49]
	v_accvgpr_write_b32 a9, v29
	v_accvgpr_write_b32 a10, v30
	;; [unrolled: 1-line block ×3, first 2 shown]
	scratch_store_dwordx4 off, v[24:27], s33 offset:1068 ; 16-byte Folded Spill
	v_fmac_f64_e32 v[52:53], v[32:33], v[20:21]
	v_accvgpr_write_b32 a0, v32
	v_div_scale_f64 v[26:27], s[0:1], v[58:59], v[58:59], v[50:51]
	v_rcp_f64_e32 v[30:31], v[12:13]
	v_accvgpr_write_b32 a1, v33
	v_accvgpr_write_b32 a2, v34
	;; [unrolled: 1-line block ×3, first 2 shown]
	v_div_scale_f64 v[32:33], s[2:3], v[58:59], v[58:59], v[52:53]
	v_rcp_f64_e32 v[36:37], v[26:27]
	v_rcp_f64_e32 v[38:39], v[32:33]
	v_fma_f64 v[34:35], -v[12:13], v[30:31], 1.0
	v_fmac_f64_e32 v[30:31], v[30:31], v[34:35]
	v_fma_f64 v[34:35], -v[26:27], v[36:37], 1.0
	v_fmac_f64_e32 v[36:37], v[36:37], v[34:35]
	;; [unrolled: 2-line block ×4, first 2 shown]
	v_fma_f64 v[34:35], -v[26:27], v[36:37], 1.0
	v_div_scale_f64 v[24:25], vcc, v[48:49], v[58:59], v[48:49]
	v_fmac_f64_e32 v[36:37], v[36:37], v[34:35]
	v_fma_f64 v[34:35], -v[32:33], v[38:39], 1.0
	v_div_scale_f64 v[28:29], s[0:1], v[50:51], v[58:59], v[50:51]
	v_fmac_f64_e32 v[38:39], v[38:39], v[34:35]
	v_mul_f64 v[34:35], v[24:25], v[30:31]
	v_fma_f64 v[12:13], -v[12:13], v[34:35], v[24:25]
	v_mul_f64 v[24:25], v[28:29], v[36:37]
	v_fma_f64 v[26:27], -v[26:27], v[24:25], v[28:29]
	v_div_scale_f64 v[28:29], s[2:3], v[52:53], v[58:59], v[52:53]
	v_mul_f64 v[42:43], v[28:29], v[38:39]
	v_fma_f64 v[28:29], -v[32:33], v[42:43], v[28:29]
	v_div_fmas_f64 v[54:55], v[12:13], v[30:31], v[34:35]
	flat_load_dwordx4 v[20:23], v[16:17]
	s_mov_b64 vcc, s[0:1]
	flat_load_dwordx4 v[32:35], v[16:17] offset:48
	v_accvgpr_write_b32 a4, v8
	v_div_fmas_f64 v[40:41], v[26:27], v[36:37], v[24:25]
	s_mov_b64 vcc, s[2:3]
	v_accvgpr_write_b32 a5, v9
	v_accvgpr_write_b32 a6, v10
	;; [unrolled: 1-line block ×3, first 2 shown]
	v_div_fmas_f64 v[42:43], v[28:29], v[38:39], v[42:43]
	flat_load_dwordx4 v[24:27], v[16:17] offset:16
	flat_load_dwordx4 v[8:11], v[6:7] offset:48
	flat_load_dwordx4 v[12:15], v[6:7]
	flat_load_dwordx4 v[36:39], v[6:7] offset:16
	s_waitcnt vmcnt(0) lgkmcnt(0)
	v_accvgpr_write_b32 a16, v20
	v_accvgpr_write_b32 a17, v21
	v_mul_f64 v[44:45], v[20:21], v[32:33]
	v_accvgpr_write_b32 a18, v22
	v_accvgpr_write_b32 a19, v23
	scratch_store_dwordx4 off, v[32:35], s33 offset:1100 ; 16-byte Folded Spill
	v_add_f64 v[0:1], v[8:9], v[32:33]
	v_fmac_f64_e32 v[44:45], v[12:13], v[8:9]
	v_div_scale_f64 v[28:29], s[0:1], v[0:1], v[0:1], v[44:45]
	v_rcp_f64_e32 v[30:31], v[28:29]
	v_accvgpr_write_b32 a23, v15
	v_accvgpr_write_b32 a22, v14
	;; [unrolled: 1-line block ×3, first 2 shown]
	v_fma_f64 v[46:47], -v[28:29], v[30:31], 1.0
	v_fmac_f64_e32 v[30:31], v[30:31], v[46:47]
	v_fma_f64 v[46:47], -v[28:29], v[30:31], 1.0
	v_fmac_f64_e32 v[30:31], v[30:31], v[46:47]
	v_div_scale_f64 v[46:47], vcc, v[44:45], v[0:1], v[44:45]
	v_mul_f64 v[56:57], v[46:47], v[30:31]
	v_fma_f64 v[28:29], -v[28:29], v[56:57], v[46:47]
	v_accvgpr_write_b32 a20, v12
	s_nop 0
	v_div_fmas_f64 v[46:47], v[28:29], v[30:31], v[56:57]
	v_mul_f64 v[56:57], v[22:23], v[32:33]
	v_fmac_f64_e32 v[56:57], v[14:15], v[8:9]
	v_mov_b64_e32 v[14:15], v[0:1]
	v_div_scale_f64 v[28:29], s[0:1], v[14:15], v[14:15], v[56:57]
	v_rcp_f64_e32 v[30:31], v[28:29]
	v_mov_b64_e32 v[12:13], v[58:59]
	scratch_store_dwordx4 off, v[8:11], s33 offset:1116 ; 16-byte Folded Spill
	v_mul_f64 v[18:19], v[12:13], v[14:15]
	v_fma_f64 v[58:59], -v[28:29], v[30:31], 1.0
	v_fmac_f64_e32 v[30:31], v[30:31], v[58:59]
	v_fma_f64 v[58:59], -v[28:29], v[30:31], 1.0
	v_fmac_f64_e32 v[30:31], v[30:31], v[58:59]
	v_div_scale_f64 v[58:59], vcc, v[56:57], v[14:15], v[56:57]
	v_mul_f64 v[20:21], v[58:59], v[30:31]
	v_fma_f64 v[22:23], -v[28:29], v[20:21], v[58:59]
	v_accvgpr_write_b32 a59, v13
	s_nop 0
	v_div_fmas_f64 v[20:21], v[22:23], v[30:31], v[20:21]
	v_mul_f64 v[22:23], v[24:25], v[32:33]
	v_fmac_f64_e32 v[22:23], v[36:37], v[8:9]
	v_div_scale_f64 v[28:29], s[0:1], v[14:15], v[14:15], v[22:23]
	v_rcp_f64_e32 v[30:31], v[28:29]
	v_add_f64 v[8:9], v[12:13], v[14:15]
	v_accvgpr_write_b32 a58, v12
	v_fma_f64 v[58:59], -v[28:29], v[30:31], 1.0
	v_fmac_f64_e32 v[30:31], v[30:31], v[58:59]
	v_fma_f64 v[58:59], -v[28:29], v[30:31], 1.0
	v_fmac_f64_e32 v[30:31], v[30:31], v[58:59]
	v_div_scale_f64 v[58:59], vcc, v[22:23], v[14:15], v[22:23]
	v_mul_f64 v[32:33], v[58:59], v[30:31]
	v_fma_f64 v[28:29], -v[28:29], v[32:33], v[58:59]
	s_nop 1
	v_div_fmas_f64 v[32:33], v[28:29], v[30:31], v[32:33]
	v_div_scale_f64 v[28:29], s[0:1], v[8:9], v[8:9], v[18:19]
	v_rcp_f64_e32 v[30:31], v[28:29]
	s_nop 0
	v_fma_f64 v[34:35], -v[28:29], v[30:31], 1.0
	v_fmac_f64_e32 v[30:31], v[30:31], v[34:35]
	v_fma_f64 v[34:35], -v[28:29], v[30:31], 1.0
	v_fmac_f64_e32 v[30:31], v[30:31], v[34:35]
	v_div_scale_f64 v[34:35], vcc, v[18:19], v[8:9], v[18:19]
	v_mul_f64 v[58:59], v[34:35], v[30:31]
	v_fma_f64 v[28:29], -v[28:29], v[58:59], v[34:35]
	v_div_fixup_f64 v[34:35], v[46:47], v[14:15], v[44:45]
	s_nop 0
	v_div_fmas_f64 v[58:59], v[28:29], v[30:31], v[58:59]
	flat_load_dwordx4 v[28:31], v[2:3] offset:32
	v_accvgpr_write_b32 a30, v34
	flat_load_dwordx4 v[0:3], v[4:5] offset:32
	v_accvgpr_write_b32 a31, v35
	s_waitcnt vmcnt(0) lgkmcnt(0)
	v_cvt_i32_f64_e32 v29, v[28:29]
	v_cvt_i32_f64_e32 v11, v[30:31]
	;; [unrolled: 1-line block ×4, first 2 shown]
	flat_load_dwordx4 v[0:3], v[6:7] offset:32
	v_div_fixup_f64 v[6:7], v[20:21], v[14:15], v[56:57]
	v_div_fixup_f64 v[56:57], v[32:33], v[14:15], v[22:23]
	v_accvgpr_read_b32 v23, a3
	v_accvgpr_read_b32 v22, a2
	;; [unrolled: 1-line block ×4, first 2 shown]
	v_cvt_i32_f64_e32 v47, v[22:23]
	v_accvgpr_read_b32 v23, a15
	v_accvgpr_read_b32 v22, a14
	v_cvt_i32_f64_e32 v45, v[22:23]
	v_accvgpr_read_b32 v21, a13
	v_accvgpr_read_b32 v20, a12
	v_accvgpr_write_b32 a14, v36
	v_accvgpr_write_b32 a15, v37
	v_cvt_i32_f64_e32 v36, v[38:39]
	v_accvgpr_write_b32 a29, v7
	v_accvgpr_write_b32 a2, v20
	;; [unrolled: 1-line block ×6, first 2 shown]
	s_waitcnt vmcnt(0) lgkmcnt(0)
	v_cvt_i32_f64_e32 v30, v[0:1]
	v_cvt_i32_f64_e32 v28, v[2:3]
	flat_load_dwordx4 v[0:3], v[16:17] offset:32
	v_div_fixup_f64 v[16:17], v[42:43], v[12:13], v[52:53]
	v_mov_b32_e32 v43, v10
	v_accvgpr_write_b32 a12, v30
	v_accvgpr_write_b32 a37, v28
	s_waitcnt vmcnt(0) lgkmcnt(0)
	v_cvt_i32_f64_e32 v4, v[0:1]
	v_div_fixup_f64 v[0:1], v[40:41], v[12:13], v[50:51]
	v_cvt_i32_f64_e32 v5, v[2:3]
	v_div_fixup_f64 v[2:3], v[54:55], v[12:13], v[48:49]
	v_accvgpr_write_b32 a25, v1
	v_accvgpr_write_b32 a24, v0
	v_add_f64 v[0:1], v[0:1], -v[6:7]
	v_accvgpr_write_b32 a27, v3
	v_mul_f64 v[0:1], v[0:1], v[0:1]
	v_accvgpr_write_b32 a26, v2
	v_add_f64 v[2:3], v[2:3], -v[34:35]
	v_fmac_f64_e32 v[0:1], v[2:3], v[2:3]
	v_add_f64 v[2:3], v[16:17], -v[56:57]
	v_fmac_f64_e32 v[0:1], v[2:3], v[2:3]
	v_add_u32_e32 v2, v29, v47
	v_add3_u32 v2, v2, v11, v45
	v_add3_u32 v2, v2, v60, v43
	;; [unrolled: 1-line block ×3, first 2 shown]
	v_cvt_i32_f64_e32 v3, v[26:27]
	v_add3_u32 v2, v2, v28, v3
	v_add3_u32 v44, v2, v4, v5
	v_lshrrev_b32_e32 v2, 31, v44
	v_add_u32_e32 v2, v44, v2
	v_ashrrev_i32_e32 v2, 1, v2
	scratch_store_dword off, v3, s33 offset:780 ; 4-byte Folded Spill
	scratch_store_dword off, v4, s33 offset:784 ; 4-byte Folded Spill
	;; [unrolled: 1-line block ×4, first 2 shown]
	scratch_store_dwordx2 off, v[8:9], s33 offset:936 ; 8-byte Folded Spill
	v_div_fixup_f64 v[2:3], v[58:59], v[8:9], v[18:19]
	v_mov_b64_e32 v[12:13], v[14:15]
	v_mov_b64_e32 v[8:9], v[18:19]
	v_mul_f64 v[10:11], v[2:3], v[0:1]
	v_cmp_lt_i32_e32 vcc, 5, v44
	scratch_store_dwordx2 off, v[2:3], s33 offset:1132 ; 8-byte Folded Spill
	s_and_saveexec_b64 s[0:1], vcc
	s_xor_b64 s[2:3], exec, s[0:1]
	s_cbranch_execz .LBB0_82
; %bb.1:
	scratch_load_dword v0, off, s33 offset:932 ; 4-byte Folded Reload
	s_waitcnt vmcnt(0)
	v_cmp_lt_i32_e32 vcc, 3, v0
	s_and_saveexec_b64 s[0:1], vcc
	s_xor_b64 s[4:5], exec, s[0:1]
	s_cbranch_execz .LBB0_41
; %bb.2:
	scratch_load_dword v0, off, s33 offset:932 ; 4-byte Folded Reload
	s_waitcnt vmcnt(0)
	v_cmp_eq_u32_e32 vcc, 4, v0
	s_and_saveexec_b64 s[6:7], vcc
	s_cbranch_execz .LBB0_40
; %bb.3:
	s_mov_b32 s0, 0xf40d8376
	s_mov_b32 s1, 0x3e9421f5
	v_cmp_ngt_f64_e32 vcc, s[0:1], v[10:11]
                                        ; implicit-def: $vgpr0_vgpr1
                                        ; implicit-def: $vgpr30_vgpr31
                                        ; implicit-def: $vgpr54_vgpr55
                                        ; implicit-def: $vgpr50_vgpr51
                                        ; implicit-def: $vgpr26_vgpr27
                                        ; implicit-def: $vgpr6_vgpr7
	s_and_saveexec_b64 s[0:1], vcc
	s_xor_b64 s[8:9], exec, s[0:1]
	s_cbranch_execz .LBB0_37
; %bb.4:
	v_cmp_ngt_f64_e32 vcc, 1.0, v[10:11]
                                        ; implicit-def: $vgpr0_vgpr1
                                        ; implicit-def: $vgpr30_vgpr31
                                        ; implicit-def: $vgpr54_vgpr55
                                        ; implicit-def: $vgpr50_vgpr51
                                        ; implicit-def: $vgpr26_vgpr27
                                        ; implicit-def: $vgpr6_vgpr7
	s_and_saveexec_b64 s[0:1], vcc
	s_xor_b64 s[10:11], exec, s[0:1]
	s_cbranch_execz .LBB0_34
; %bb.5:
	s_mov_b32 s0, 0
	s_mov_b32 s1, 0x40140000
	v_cmp_ngt_f64_e32 vcc, s[0:1], v[10:11]
                                        ; implicit-def: $vgpr0_vgpr1
                                        ; implicit-def: $vgpr30_vgpr31
                                        ; implicit-def: $vgpr54_vgpr55
                                        ; implicit-def: $vgpr50_vgpr51
                                        ; implicit-def: $vgpr26_vgpr27
                                        ; implicit-def: $vgpr6_vgpr7
	s_and_saveexec_b64 s[0:1], vcc
	s_xor_b64 s[12:13], exec, s[0:1]
	s_cbranch_execz .LBB0_31
; %bb.6:
	s_mov_b32 s0, 0
	s_mov_b32 s1, 0x40240000
	v_cmp_ngt_f64_e32 vcc, s[0:1], v[10:11]
	;; [unrolled: 13-line block ×6, first 2 shown]
                                        ; implicit-def: $vgpr0_vgpr1
                                        ; implicit-def: $vgpr30_vgpr31
                                        ; implicit-def: $vgpr54_vgpr55
                                        ; implicit-def: $vgpr50_vgpr51
                                        ; implicit-def: $vgpr26_vgpr27
                                        ; implicit-def: $vgpr6_vgpr7
	s_and_saveexec_b64 s[0:1], vcc
	s_xor_b64 s[22:23], exec, s[0:1]
	s_cbranch_execz .LBB0_16
; %bb.11:
	s_mov_b32 s0, 0x54442d15
	s_mov_b32 s1, 0x3fe921fb
	v_div_scale_f64 v[0:1], s[24:25], v[10:11], v[10:11], s[0:1]
	v_rcp_f64_e32 v[2:3], v[0:1]
                                        ; implicit-def: $vgpr30_vgpr31
                                        ; implicit-def: $vgpr54_vgpr55
                                        ; implicit-def: $vgpr50_vgpr51
                                        ; implicit-def: $vgpr26_vgpr27
	s_nop 0
	v_fma_f64 v[4:5], -v[0:1], v[2:3], 1.0
	v_fmac_f64_e32 v[2:3], v[2:3], v[4:5]
	v_fma_f64 v[4:5], -v[0:1], v[2:3], 1.0
	v_fmac_f64_e32 v[2:3], v[2:3], v[4:5]
	v_div_scale_f64 v[4:5], vcc, s[0:1], v[10:11], s[0:1]
	v_mul_f64 v[6:7], v[4:5], v[2:3]
	v_fma_f64 v[0:1], -v[0:1], v[6:7], v[4:5]
	s_nop 1
	v_div_fmas_f64 v[0:1], v[0:1], v[2:3], v[6:7]
	v_div_fixup_f64 v[0:1], v[0:1], v[10:11], s[0:1]
	s_mov_b32 s0, 0
	s_brev_b32 s1, 8
	v_mov_b32_e32 v2, 0x100
	v_cmp_gt_f64_e32 vcc, s[0:1], v[0:1]
	s_mov_b32 s0, 0
	s_mov_b32 s1, 0x404d8000
	v_cndmask_b32_e32 v2, 0, v2, vcc
	v_ldexp_f64 v[0:1], v[0:1], v2
	v_rsq_f64_e32 v[2:3], v[0:1]
	v_cmp_ngt_f64_e64 s[0:1], s[0:1], v[10:11]
	v_mul_f64 v[4:5], v[0:1], v[2:3]
	v_mul_f64 v[2:3], v[2:3], 0.5
	v_fma_f64 v[6:7], -v[2:3], v[4:5], 0.5
	v_fmac_f64_e32 v[4:5], v[4:5], v[6:7]
	v_fma_f64 v[20:21], -v[4:5], v[4:5], v[0:1]
	v_fmac_f64_e32 v[2:3], v[2:3], v[6:7]
	v_fmac_f64_e32 v[4:5], v[20:21], v[2:3]
	v_fma_f64 v[6:7], -v[4:5], v[4:5], v[0:1]
	v_fmac_f64_e32 v[4:5], v[6:7], v[2:3]
	v_mov_b32_e32 v2, 0xffffff80
	v_cndmask_b32_e32 v2, 0, v2, vcc
	v_ldexp_f64 v[2:3], v[4:5], v2
	v_mov_b32_e32 v4, 0x260
	v_cmp_class_f64_e32 vcc, v[0:1], v4
                                        ; implicit-def: $vgpr6_vgpr7
	s_nop 1
	v_cndmask_b32_e32 v19, v3, v1, vcc
	v_cndmask_b32_e32 v18, v2, v0, vcc
                                        ; implicit-def: $vgpr0_vgpr1
	s_and_saveexec_b64 s[24:25], s[0:1]
	s_xor_b64 s[0:1], exec, s[24:25]
	s_cbranch_execz .LBB0_13
; %bb.12:
	s_mov_b32 s25, 0xbfbe19cf
	s_mov_b32 s24, 0x34ee1a66
	v_add_f64 v[0:1], v[10:11], s[24:25]
	s_mov_b32 s25, 0x3fbe19cf
	v_div_scale_f64 v[2:3], s[26:27], v[0:1], v[0:1], s[24:25]
	v_rcp_f64_e32 v[4:5], v[2:3]
	s_mov_b32 s27, 0xbff13167
	s_mov_b32 s26, 0xefcf0c01
	;; [unrolled: 1-line block ×3, first 2 shown]
	v_fma_f64 v[6:7], -v[2:3], v[4:5], 1.0
	v_fmac_f64_e32 v[4:5], v[4:5], v[6:7]
	v_fma_f64 v[6:7], -v[2:3], v[4:5], 1.0
	v_fmac_f64_e32 v[4:5], v[4:5], v[6:7]
	v_div_scale_f64 v[6:7], vcc, s[24:25], v[0:1], s[24:25]
	v_mul_f64 v[20:21], v[6:7], v[4:5]
	v_fma_f64 v[2:3], -v[2:3], v[20:21], v[6:7]
	v_add_f64 v[6:7], v[10:11], s[26:27]
	s_mov_b32 s27, 0x3ff13167
	v_div_scale_f64 v[22:23], s[28:29], v[6:7], v[6:7], s[26:27]
	v_rcp_f64_e32 v[26:27], v[22:23]
	v_div_fmas_f64 v[2:3], v[2:3], v[4:5], v[20:21]
	v_div_fixup_f64 v[0:1], v[2:3], v[0:1], s[24:25]
	s_mov_b32 s25, 0xc008afff
	v_fma_f64 v[2:3], -v[22:23], v[26:27], 1.0
	v_fmac_f64_e32 v[26:27], v[26:27], v[2:3]
	v_fma_f64 v[2:3], -v[22:23], v[26:27], 1.0
	v_fmac_f64_e32 v[26:27], v[26:27], v[2:3]
	v_div_scale_f64 v[2:3], vcc, s[26:27], v[6:7], s[26:27]
	s_mov_b32 s24, 0xf872263f
	v_mul_f64 v[4:5], v[2:3], v[26:27]
	v_add_f64 v[20:21], v[10:11], s[24:25]
	s_mov_b32 s25, 0x4008afff
	v_fma_f64 v[2:3], -v[22:23], v[4:5], v[2:3]
	v_div_scale_f64 v[22:23], s[28:29], v[20:21], v[20:21], s[24:25]
	v_rcp_f64_e32 v[28:29], v[22:23]
	v_div_fmas_f64 v[2:3], v[2:3], v[26:27], v[4:5]
	v_div_fixup_f64 v[2:3], v[2:3], v[6:7], s[26:27]
	s_mov_b32 s27, 0xc019a8ae
	v_fma_f64 v[4:5], -v[22:23], v[28:29], 1.0
	v_fmac_f64_e32 v[28:29], v[28:29], v[4:5]
	v_fma_f64 v[4:5], -v[22:23], v[28:29], 1.0
	v_fmac_f64_e32 v[28:29], v[28:29], v[4:5]
	v_div_scale_f64 v[4:5], vcc, s[24:25], v[20:21], s[24:25]
	v_mul_f64 v[6:7], v[4:5], v[28:29]
	s_mov_b32 s26, 0xe94b0762
	v_fma_f64 v[4:5], -v[22:23], v[6:7], v[4:5]
	v_add_f64 v[22:23], v[10:11], s[26:27]
	s_mov_b32 s27, 0x4019a8ae
	v_div_scale_f64 v[26:27], s[28:29], v[22:23], v[22:23], s[26:27]
	v_rcp_f64_e32 v[30:31], v[26:27]
	v_div_fmas_f64 v[4:5], v[4:5], v[28:29], v[6:7]
	v_div_fixup_f64 v[4:5], v[4:5], v[20:21], s[24:25]
	s_mov_b32 s25, 0xc0279d47
	v_fma_f64 v[6:7], -v[26:27], v[30:31], 1.0
	v_fmac_f64_e32 v[30:31], v[30:31], v[6:7]
	v_fma_f64 v[6:7], -v[26:27], v[30:31], 1.0
	v_fmac_f64_e32 v[30:31], v[30:31], v[6:7]
	v_div_scale_f64 v[6:7], vcc, s[26:27], v[22:23], s[26:27]
	s_mov_b32 s24, 0xf0da34ed
	v_mul_f64 v[20:21], v[6:7], v[30:31]
	v_add_f64 v[10:11], v[10:11], s[24:25]
	s_mov_b32 s25, 0x40279d47
	v_fma_f64 v[6:7], -v[26:27], v[20:21], v[6:7]
	v_div_scale_f64 v[26:27], s[28:29], v[10:11], v[10:11], s[24:25]
	v_rcp_f64_e32 v[28:29], v[26:27]
	v_div_fmas_f64 v[6:7], v[6:7], v[30:31], v[20:21]
	v_div_fixup_f64 v[6:7], v[6:7], v[22:23], s[26:27]
	s_mov_b32 s27, 0x3fa391fc
	v_fma_f64 v[20:21], -v[26:27], v[28:29], 1.0
	v_fmac_f64_e32 v[28:29], v[28:29], v[20:21]
	v_fma_f64 v[20:21], -v[26:27], v[28:29], 1.0
	v_fmac_f64_e32 v[28:29], v[28:29], v[20:21]
	v_div_scale_f64 v[20:21], vcc, s[24:25], v[10:11], s[24:25]
	v_mul_f64 v[22:23], v[20:21], v[28:29]
	v_fma_f64 v[20:21], -v[26:27], v[22:23], v[20:21]
	s_mov_b32 s26, 0x74e7187a
	s_nop 0
	v_div_fmas_f64 v[20:21], v[20:21], v[28:29], v[22:23]
	v_div_fixup_f64 v[26:27], v[20:21], v[10:11], s[24:25]
	s_mov_b32 s25, 0x3fd15787
	s_mov_b32 s24, 0xacb87a1d
	v_mul_f64 v[50:51], v[18:19], s[24:25]
	s_mov_b32 s25, 0xbfd15787
	v_mul_f64 v[52:53], v[18:19], s[26:27]
	s_mov_b32 s29, 0x3f58d728
	s_mov_b32 s28, 0xef7a4729
	v_fma_f64 v[48:49], s[24:25], v[18:19], v[18:19]
	s_mov_b32 s27, 0xbfa391fc
	v_mul_f64 v[54:55], v[18:19], s[28:29]
	s_mov_b32 s40, 0x2c35b4c1
	v_fmac_f64_e32 v[48:49], s[26:27], v[18:19]
	s_mov_b32 s29, 0xbf58d728
	v_mul_f64 v[30:31], v[18:19], s[40:41]
	v_fmac_f64_e32 v[48:49], s[28:29], v[18:19]
	s_mov_b32 s41, 0xbee21487
	v_fmac_f64_e32 v[48:49], s[40:41], v[18:19]
                                        ; implicit-def: $vgpr10_vgpr11
                                        ; implicit-def: $vgpr18_vgpr19
.LBB0_13:
	s_andn2_saveexec_b64 s[24:25], s[0:1]
	s_cbranch_execz .LBB0_15
; %bb.14:
	v_mov_b32_e32 v0, 0x40080000
	v_mov_b32_e32 v1, 0x3ff00000
	v_cmp_eq_f64_e32 vcc, 1.0, v[10:11]
	v_frexp_mant_f64_e32 v[2:3], v[10:11]
	s_mov_b32 s1, 0x3fe55555
	s_mov_b32 s0, 0x55555555
	v_cndmask_b32_e32 v1, v0, v1, vcc
	v_cmp_gt_f64_e32 vcc, s[0:1], v[2:3]
	v_frexp_exp_i32_f64_e32 v4, v[10:11]
	s_mov_b32 s26, 0x4222de17
	v_cndmask_b32_e64 v5, 0, 1, vcc
	v_ldexp_f64 v[2:3], v[2:3], v5
	v_subbrev_co_u32_e32 v30, vcc, 0, v4, vcc
	v_add_f64 v[4:5], v[2:3], 1.0
	v_rcp_f64_e32 v[6:7], v[4:5]
	v_add_f64 v[22:23], v[4:5], -1.0
	v_add_f64 v[20:21], v[2:3], -1.0
	v_add_f64 v[2:3], v[2:3], -v[22:23]
	v_fma_f64 v[22:23], -v[4:5], v[6:7], 1.0
	v_fmac_f64_e32 v[6:7], v[22:23], v[6:7]
	v_fma_f64 v[22:23], -v[4:5], v[6:7], 1.0
	v_fmac_f64_e32 v[6:7], v[22:23], v[6:7]
	v_mul_f64 v[22:23], v[20:21], v[6:7]
	v_mul_f64 v[26:27], v[4:5], v[22:23]
	v_fma_f64 v[4:5], v[22:23], v[4:5], -v[26:27]
	v_fmac_f64_e32 v[4:5], v[22:23], v[2:3]
	v_add_f64 v[2:3], v[26:27], v[4:5]
	v_add_f64 v[28:29], v[20:21], -v[2:3]
	v_add_f64 v[26:27], v[2:3], -v[26:27]
	;; [unrolled: 1-line block ×5, first 2 shown]
	v_add_f64 v[2:3], v[4:5], v[2:3]
	v_add_f64 v[2:3], v[28:29], v[2:3]
	v_mul_f64 v[4:5], v[6:7], v[2:3]
	v_add_f64 v[2:3], v[22:23], v[4:5]
	v_add_f64 v[6:7], v[2:3], -v[22:23]
	v_add_f64 v[26:27], v[4:5], -v[6:7]
	v_mul_f64 v[6:7], v[2:3], v[2:3]
	v_fma_f64 v[20:21], v[2:3], v[2:3], -v[6:7]
	v_add_f64 v[4:5], v[26:27], v[26:27]
	v_fmac_f64_e32 v[20:21], v[2:3], v[4:5]
	v_add_f64 v[4:5], v[6:7], v[20:21]
	v_add_f64 v[6:7], v[4:5], -v[6:7]
	v_add_f64 v[6:7], v[20:21], -v[6:7]
	v_mov_b32_e32 v20, 0x968915a9
	v_mov_b32_e32 v21, 0x3fba6564
	s_mov_b32 s27, 0x3fbdee67
	v_fmac_f64_e32 v[20:21], s[26:27], v[4:5]
	v_mov_b32_e32 v22, 0x3abe935a
	v_mov_b32_e32 v23, 0x3fbe25e4
	v_fmac_f64_e32 v[22:23], v[4:5], v[20:21]
	v_mov_b32_e32 v20, 0x47e6c9c2
	v_mov_b32_e32 v21, 0x3fc110ef
	;; [unrolled: 3-line block ×7, first 2 shown]
	v_fmac_f64_e32 v[22:23], v[4:5], v[20:21]
	v_cvt_f64_i32_e32 v[20:21], v30
	s_mov_b32 s27, 0x3fe62e42
	s_mov_b32 s26, 0xfefa39ef
	v_mul_f64 v[28:29], v[20:21], s[26:27]
	v_fma_f64 v[30:31], v[20:21], s[26:27], -v[28:29]
	s_mov_b32 s29, 0x3c7abc9e
	s_mov_b32 s28, 0x3b39803f
	v_mul_f64 v[34:35], v[2:3], v[4:5]
	v_fmac_f64_e32 v[30:31], s[28:29], v[20:21]
	v_fma_f64 v[48:49], v[4:5], v[2:3], -v[34:35]
	v_add_f64 v[20:21], v[28:29], v[30:31]
	v_fmac_f64_e32 v[48:49], v[4:5], v[26:27]
	v_add_f64 v[28:29], v[20:21], -v[28:29]
	v_fmac_f64_e32 v[48:49], v[6:7], v[2:3]
	v_add_f64 v[30:31], v[30:31], -v[28:29]
	v_ldexp_f64 v[28:29], v[2:3], 1
	v_add_f64 v[2:3], v[34:35], v[48:49]
	v_ldexp_f64 v[32:33], v[26:27], 1
	v_add_f64 v[26:27], v[2:3], -v[34:35]
	v_mul_f64 v[34:35], v[4:5], v[22:23]
	v_fma_f64 v[4:5], v[4:5], v[22:23], -v[34:35]
	v_fmac_f64_e32 v[4:5], v[6:7], v[22:23]
	v_add_f64 v[6:7], v[34:35], v[4:5]
	v_add_f64 v[22:23], v[6:7], -v[34:35]
	v_add_f64 v[4:5], v[4:5], -v[22:23]
	v_add_f64 v[22:23], v[6:7], s[0:1]
	s_mov_b32 s1, 0xbfe55555
	v_add_f64 v[34:35], v[22:23], s[0:1]
	s_mov_b32 s0, 0xd5df274d
	s_mov_b32 s1, 0x3c8543b0
	v_add_f64 v[6:7], v[6:7], -v[34:35]
	v_add_f64 v[4:5], v[4:5], s[0:1]
	v_add_f64 v[4:5], v[4:5], v[6:7]
	;; [unrolled: 1-line block ×3, first 2 shown]
	v_add_f64 v[22:23], v[22:23], -v[6:7]
	v_add_f64 v[4:5], v[4:5], v[22:23]
	v_mul_f64 v[22:23], v[2:3], v[6:7]
	v_fma_f64 v[34:35], v[2:3], v[6:7], -v[22:23]
	v_add_f64 v[26:27], v[48:49], -v[26:27]
	v_fmac_f64_e32 v[34:35], v[2:3], v[4:5]
	v_fmac_f64_e32 v[34:35], v[26:27], v[6:7]
	v_add_f64 v[2:3], v[22:23], v[34:35]
	v_add_f64 v[4:5], v[2:3], -v[22:23]
	v_add_f64 v[6:7], v[28:29], v[2:3]
	v_add_f64 v[4:5], v[34:35], -v[4:5]
	v_add_f64 v[22:23], v[6:7], -v[28:29]
	;; [unrolled: 1-line block ×3, first 2 shown]
	v_add_f64 v[4:5], v[32:33], v[4:5]
	v_add_f64 v[2:3], v[4:5], v[2:3]
	;; [unrolled: 1-line block ×3, first 2 shown]
	v_add_f64 v[6:7], v[4:5], -v[6:7]
	v_add_f64 v[2:3], v[2:3], -v[6:7]
	v_add_f64 v[6:7], v[20:21], v[4:5]
	v_add_f64 v[22:23], v[6:7], -v[20:21]
	v_add_f64 v[26:27], v[6:7], -v[22:23]
	;; [unrolled: 1-line block ×4, first 2 shown]
	v_add_f64 v[4:5], v[4:5], v[20:21]
	v_add_f64 v[20:21], v[30:31], v[2:3]
	v_add_f64 v[22:23], v[20:21], -v[30:31]
	v_add_f64 v[4:5], v[20:21], v[4:5]
	v_add_f64 v[26:27], v[20:21], -v[22:23]
	;; [unrolled: 2-line block ×3, first 2 shown]
	v_add_f64 v[2:3], v[2:3], -v[22:23]
	v_add_f64 v[6:7], v[20:21], -v[6:7]
	v_add_f64 v[2:3], v[2:3], v[26:27]
	v_add_f64 v[4:5], v[4:5], -v[6:7]
	v_add_f64 v[2:3], v[2:3], v[4:5]
	v_add_f64 v[4:5], v[20:21], v[2:3]
	v_mov_b32_e32 v0, 0
	v_add_f64 v[6:7], v[4:5], -v[20:21]
	v_add_f64 v[2:3], v[2:3], -v[6:7]
	v_mul_f64 v[6:7], v[0:1], v[4:5]
	v_fma_f64 v[4:5], v[0:1], v[4:5], -v[6:7]
	v_fmac_f64_e32 v[4:5], v[0:1], v[2:3]
	v_add_f64 v[0:1], v[6:7], v[4:5]
	s_movk_i32 s76, 0x204
	v_add_f64 v[2:3], v[0:1], -v[6:7]
	v_cmp_class_f64_e64 vcc, v[6:7], s76
	s_mov_b32 s0, 0
	v_add_f64 v[4:5], v[4:5], -v[2:3]
	v_cndmask_b32_e32 v3, v1, v7, vcc
	v_cndmask_b32_e32 v2, v0, v6, vcc
	s_mov_b32 s1, 0x7ff00000
	v_cmp_neq_f64_e64 vcc, |v[2:3]|, s[0:1]
	s_mov_b32 s41, 0x3ff71547
	s_mov_b32 s40, 0x652b82fe
	v_cndmask_b32_e32 v1, 0, v5, vcc
	v_cndmask_b32_e32 v0, 0, v4, vcc
	v_mul_f64 v[4:5], v[2:3], s[40:41]
	v_rndne_f64_e32 v[6:7], v[4:5]
	s_mov_b32 s27, 0xbfe62e42
	s_mov_b32 s0, 0xfca7ab0c
	v_fma_f64 v[26:27], s[26:27], v[6:7], v[2:3]
	s_mov_b32 s29, 0xbc7abc9e
	s_mov_b32 s1, 0x3e928af3
	;; [unrolled: 1-line block ×3, first 2 shown]
	v_fmac_f64_e32 v[26:27], s[28:29], v[6:7]
	s_mov_b32 s43, 0x3e5ade15
	v_mov_b64_e32 v[4:5], s[0:1]
	s_mov_b32 s44, 0x623fde64
	v_fma_f64 v[20:21], s[42:43], v[26:27], v[4:5]
	s_mov_b32 s45, 0x3ec71dee
	s_mov_b32 s46, 0x7c89e6b0
	v_fma_f64 v[20:21], v[26:27], v[20:21], s[44:45]
	s_mov_b32 s47, 0x3efa0199
	s_mov_b32 s56, 0x14761f6e
	v_fma_f64 v[20:21], v[26:27], v[20:21], s[46:47]
	s_mov_b32 s57, 0x3f2a01a0
	s_mov_b32 s58, 0x1852b7b0
	v_fma_f64 v[20:21], v[26:27], v[20:21], s[56:57]
	s_mov_b32 s59, 0x3f56c16c
	s_mov_b32 s60, 0x11122322
	v_fma_f64 v[20:21], v[26:27], v[20:21], s[58:59]
	s_mov_b32 s61, 0x3f811111
	s_mov_b32 s62, 0x555502a1
	v_fma_f64 v[20:21], v[26:27], v[20:21], s[60:61]
	s_mov_b32 s63, 0x3fa55555
	s_mov_b32 s72, 0x55555511
	v_fma_f64 v[20:21], v[26:27], v[20:21], s[62:63]
	s_mov_b32 s73, 0x3fc55555
	s_mov_b32 s74, 11
	v_fma_f64 v[20:21], v[26:27], v[20:21], s[72:73]
	s_mov_b32 s75, 0x3fe00000
	s_mov_b32 s0, 0
	v_fma_f64 v[20:21], v[26:27], v[20:21], s[74:75]
	s_mov_b32 s1, 0x40900000
	v_fma_f64 v[20:21], v[26:27], v[20:21], 1.0
	v_cmp_nlt_f64_e32 vcc, s[0:1], v[2:3]
	s_mov_b32 s0, 0
	v_fma_f64 v[20:21], v[26:27], v[20:21], 1.0
	v_cvt_i32_f64_e32 v6, v[6:7]
	s_mov_b32 s1, 0xc090cc00
	v_ldexp_f64 v[6:7], v[20:21], v6
	v_mov_b32_e32 v20, 0x7ff00000
	v_cmp_ngt_f64_e64 s[0:1], s[0:1], v[2:3]
	v_cndmask_b32_e32 v7, v20, v7, vcc
	s_and_b64 vcc, s[0:1], vcc
	v_cndmask_b32_e64 v3, 0, v7, s[0:1]
	v_cndmask_b32_e32 v2, 0, v6, vcc
	v_mov_b64_e32 v[6:7], v[2:3]
	s_mov_b32 s41, 0xbff71547
	v_fmac_f64_e32 v[6:7], v[6:7], v[0:1]
	v_mul_f64 v[0:1], v[10:11], s[40:41]
	v_cmp_class_f64_e64 vcc, v[2:3], s76
	v_rndne_f64_e32 v[0:1], v[0:1]
	s_mov_b32 s0, 0xcaeb734b
	v_cndmask_b32_e32 v31, v7, v3, vcc
	v_cndmask_b32_e32 v30, v6, v2, vcc
	v_fma_f64 v[2:3], v[0:1], s[26:27], -v[10:11]
	v_fmac_f64_e32 v[2:3], s[28:29], v[0:1]
	v_fmac_f64_e32 v[4:5], s[42:43], v[2:3]
	v_fma_f64 v[4:5], v[2:3], v[4:5], s[44:45]
	v_fma_f64 v[4:5], v[2:3], v[4:5], s[46:47]
	;; [unrolled: 1-line block ×8, first 2 shown]
	v_fma_f64 v[4:5], v[2:3], v[4:5], 1.0
	v_fma_f64 v[2:3], v[2:3], v[4:5], 1.0
	v_cvt_i32_f64_e32 v0, v[0:1]
	v_ldexp_f64 v[0:1], v[2:3], v0
	v_mul_f64 v[48:49], v[0:1], |v[30:31]|
	v_mov_b32_e32 v0, 0x3eaa0c05
	v_mov_b32_e32 v1, 0x40009589
	s_mov_b32 s1, 0xbf98f5fb
	v_fmac_f64_e32 v[0:1], s[0:1], v[10:11]
	v_mov_b32_e32 v2, 0xc96ff243
	v_mov_b32_e32 v3, 0xc050262b
	s_mov_b32 s1, 0xbfbe19cf
	s_mov_b32 s0, 0x34ee1a66
	v_fmac_f64_e32 v[2:3], v[10:11], v[0:1]
	v_add_f64 v[0:1], v[10:11], s[0:1]
	s_mov_b32 s1, 0x3fbe19cf
	v_div_scale_f64 v[4:5], s[26:27], v[0:1], v[0:1], s[0:1]
	v_rcp_f64_e32 v[6:7], v[4:5]
	v_mov_b32_e32 v20, 0xdc8f9da2
	v_mov_b32_e32 v21, 0x40865147
	v_fmac_f64_e32 v[20:21], v[10:11], v[2:3]
	v_fma_f64 v[2:3], -v[4:5], v[6:7], 1.0
	v_fmac_f64_e32 v[6:7], v[6:7], v[2:3]
	v_fma_f64 v[2:3], -v[4:5], v[6:7], 1.0
	v_fmac_f64_e32 v[6:7], v[6:7], v[2:3]
	v_div_scale_f64 v[2:3], vcc, s[0:1], v[0:1], s[0:1]
	v_mul_f64 v[22:23], v[2:3], v[6:7]
	v_fma_f64 v[2:3], -v[4:5], v[22:23], v[2:3]
	v_mov_b32_e32 v4, 0xa5d22b7d
	s_nop 0
	v_div_fmas_f64 v[2:3], v[2:3], v[6:7], v[22:23]
	v_div_fixup_f64 v[0:1], v[2:3], v[0:1], s[0:1]
	s_mov_b32 s0, 0x3ae66c31
	v_mov_b32_e32 v2, 0x2077fa57
	v_mov_b32_e32 v3, 0x403351af
	s_mov_b32 s1, 0xbfcd4b59
	v_fmac_f64_e32 v[2:3], s[0:1], v[10:11]
	v_mov_b32_e32 v5, 0xc082be32
	s_mov_b32 s1, 0xbff13167
	s_mov_b32 s0, 0xefcf0c01
	v_fmac_f64_e32 v[4:5], v[10:11], v[2:3]
	v_add_f64 v[2:3], v[10:11], s[0:1]
	s_mov_b32 s1, 0x3ff13167
	v_div_scale_f64 v[6:7], s[26:27], v[2:3], v[2:3], s[0:1]
	v_fmac_f64_e32 v[0:1], v[20:21], v[48:49]
	v_rcp_f64_e32 v[20:21], v[6:7]
	v_mov_b32_e32 v22, 0x102c9863
	v_mov_b32_e32 v23, 0x40b9da71
	v_fmac_f64_e32 v[22:23], v[10:11], v[4:5]
	v_fma_f64 v[4:5], -v[6:7], v[20:21], 1.0
	v_fmac_f64_e32 v[20:21], v[20:21], v[4:5]
	v_fma_f64 v[4:5], -v[6:7], v[20:21], 1.0
	v_fmac_f64_e32 v[20:21], v[20:21], v[4:5]
	v_div_scale_f64 v[4:5], vcc, s[0:1], v[2:3], s[0:1]
	v_mul_f64 v[26:27], v[4:5], v[20:21]
	v_fma_f64 v[4:5], -v[6:7], v[26:27], v[4:5]
	v_mov_b32_e32 v6, 0x6d379456
	s_nop 0
	v_div_fmas_f64 v[4:5], v[4:5], v[20:21], v[26:27]
	v_div_fixup_f64 v[2:3], v[4:5], v[2:3], s[0:1]
	s_mov_b32 s0, 0xdf16f1a0
	v_mov_b32_e32 v4, 0x4e6da19
	v_mov_b32_e32 v5, 0x404cd7fd
	s_mov_b32 s1, 0xbfe63ddf
	v_fmac_f64_e32 v[4:5], s[0:1], v[10:11]
	v_mov_b32_e32 v7, 0xc09bc42a
	s_mov_b32 s1, 0xc008afff
	s_mov_b32 s0, 0xf872263f
	v_fmac_f64_e32 v[6:7], v[10:11], v[4:5]
	v_add_f64 v[4:5], v[10:11], s[0:1]
	s_mov_b32 s1, 0x4008afff
	v_div_scale_f64 v[20:21], s[26:27], v[4:5], v[4:5], s[0:1]
	v_fmac_f64_e32 v[2:3], v[22:23], v[48:49]
	v_rcp_f64_e32 v[22:23], v[20:21]
	v_mov_b32_e32 v26, 0xee4d3bca
	v_mov_b32_e32 v27, 0x40d31426
	v_fmac_f64_e32 v[26:27], v[10:11], v[6:7]
	v_fma_f64 v[6:7], -v[20:21], v[22:23], 1.0
	v_fmac_f64_e32 v[22:23], v[22:23], v[6:7]
	v_fma_f64 v[6:7], -v[20:21], v[22:23], 1.0
	v_fmac_f64_e32 v[22:23], v[22:23], v[6:7]
	v_div_scale_f64 v[6:7], vcc, s[0:1], v[4:5], s[0:1]
	v_mul_f64 v[28:29], v[6:7], v[22:23]
	v_fma_f64 v[6:7], -v[20:21], v[28:29], v[6:7]
	v_mov_b32_e32 v20, 0x3c97222a
	s_nop 0
	v_div_fmas_f64 v[6:7], v[6:7], v[22:23], v[28:29]
	v_div_fixup_f64 v[4:5], v[6:7], v[4:5], s[0:1]
	s_mov_b32 s0, 0x89e27eba
	v_mov_b32_e32 v6, 0x53392123
	v_mov_b32_e32 v7, 0x405fc340
	s_mov_b32 s1, 0xbff94aa9
	v_fmac_f64_e32 v[6:7], s[0:1], v[10:11]
	v_mov_b32_e32 v21, 0xc0ae35bf
	s_mov_b32 s1, 0xc019a8ae
	s_mov_b32 s0, 0xe94b0762
	v_fmac_f64_e32 v[20:21], v[10:11], v[6:7]
	v_add_f64 v[6:7], v[10:11], s[0:1]
	s_mov_b32 s1, 0x4019a8ae
	v_div_scale_f64 v[22:23], s[26:27], v[6:7], v[6:7], s[0:1]
	v_fmac_f64_e32 v[4:5], v[26:27], v[48:49]
	v_rcp_f64_e32 v[26:27], v[22:23]
	v_mov_b32_e32 v28, 0x73327300
	v_mov_b32_e32 v29, 0x40e4a7cf
	v_fmac_f64_e32 v[28:29], v[10:11], v[20:21]
	v_fma_f64 v[20:21], -v[22:23], v[26:27], 1.0
	v_fmac_f64_e32 v[26:27], v[26:27], v[20:21]
	v_fma_f64 v[20:21], -v[22:23], v[26:27], 1.0
	v_fmac_f64_e32 v[26:27], v[26:27], v[20:21]
	v_div_scale_f64 v[20:21], vcc, s[0:1], v[6:7], s[0:1]
	v_mul_f64 v[32:33], v[20:21], v[26:27]
	v_fma_f64 v[20:21], -v[22:23], v[32:33], v[20:21]
	v_mov_b32_e32 v22, 0x7e24ae4
	s_nop 0
	v_div_fmas_f64 v[20:21], v[20:21], v[26:27], v[32:33]
	v_div_fixup_f64 v[6:7], v[20:21], v[6:7], s[0:1]
	s_mov_b32 s0, 0x49830b99
	v_mov_b32_e32 v20, 0xd69c7571
	v_mov_b32_e32 v21, 0x406f7a92
	s_mov_b32 s1, 0xc00ab794
	v_fmac_f64_e32 v[20:21], s[0:1], v[10:11]
	v_mov_b32_e32 v23, 0xc0bd9949
	s_mov_b32 s1, 0xc0279d47
	s_mov_b32 s0, 0xf0da34ed
	v_fmac_f64_e32 v[22:23], v[10:11], v[20:21]
	v_add_f64 v[20:21], v[10:11], s[0:1]
	s_mov_b32 s1, 0x40279d47
	v_div_scale_f64 v[26:27], s[26:27], v[20:21], v[20:21], s[0:1]
	v_fmac_f64_e32 v[6:7], v[28:29], v[48:49]
	v_rcp_f64_e32 v[28:29], v[26:27]
	v_mov_b32_e32 v32, 0xe813dd3e
	v_mov_b32_e32 v33, 0x40f4114a
	v_fmac_f64_e32 v[32:33], v[10:11], v[22:23]
	v_fma_f64 v[22:23], -v[26:27], v[28:29], 1.0
	v_fmac_f64_e32 v[28:29], v[28:29], v[22:23]
	v_fma_f64 v[22:23], -v[26:27], v[28:29], 1.0
	v_fmac_f64_e32 v[28:29], v[28:29], v[22:23]
	v_div_scale_f64 v[22:23], vcc, s[0:1], v[20:21], s[0:1]
	v_mul_f64 v[34:35], v[22:23], v[28:29]
	v_fma_f64 v[22:23], -v[26:27], v[34:35], v[22:23]
	s_nop 1
	v_div_fmas_f64 v[22:23], v[22:23], v[28:29], v[34:35]
	v_div_fixup_f64 v[26:27], v[22:23], v[20:21], s[0:1]
	s_mov_b32 s0, 0xb2d9f96a
	v_mov_b32_e32 v20, 0x79905db7
	v_mov_b32_e32 v21, 0xbe95fe39
	s_mov_b32 s1, 0x3e4d1839
	v_fmac_f64_e32 v[20:21], s[0:1], v[10:11]
	v_mov_b32_e32 v22, 0x1af920fa
	v_mov_b32_e32 v23, 0x3ec442a9
	v_fmac_f64_e32 v[26:27], v[32:33], v[48:49]
	v_mul_f64 v[48:49], |v[30:31]|, v[48:49]
	v_fmac_f64_e32 v[22:23], v[10:11], v[20:21]
	s_mov_b32 s0, 0x2c35b4c1
	v_mul_f64 v[30:31], v[22:23], v[48:49]
	s_mov_b32 s1, 0x3ee21487
	v_fmac_f64_e32 v[30:31], s[0:1], v[18:19]
	s_mov_b32 s0, 0xcf07aea
	v_mov_b32_e32 v20, 0x4f1d383e
	v_mov_b32_e32 v21, 0xbf029fbe
	s_mov_b32 s1, 0x3eb4b6be
	v_fmac_f64_e32 v[20:21], s[0:1], v[10:11]
	v_mov_b32_e32 v22, 0xc17d817a
	v_mov_b32_e32 v23, 0x3f33e01a
	v_fmac_f64_e32 v[22:23], v[10:11], v[20:21]
	s_mov_b32 s0, 0xef7a4729
	v_mul_f64 v[54:55], v[22:23], v[48:49]
	s_mov_b32 s1, 0x3f58d728
	v_fmac_f64_e32 v[54:55], s[0:1], v[18:19]
	s_mov_b32 s0, 0xa8b0034c
	v_mov_b32_e32 v20, 0xd6e11677
	v_mov_b32_e32 v21, 0xbf3b7c31
	s_mov_b32 s1, 0x3eec377c
	v_fmac_f64_e32 v[20:21], s[0:1], v[10:11]
	v_mov_b32_e32 v22, 0x6dfe45c6
	v_mov_b32_e32 v23, 0x3f6fc2cc
	v_fmac_f64_e32 v[22:23], v[10:11], v[20:21]
	s_mov_b32 s0, 0x74e7187a
	v_mul_f64 v[52:53], v[22:23], v[48:49]
	s_mov_b32 s1, 0x3fa391fc
	v_fmac_f64_e32 v[52:53], s[0:1], v[18:19]
	s_mov_b32 s0, 0x8ad0a27f
	v_mov_b32_e32 v20, 0xdc6129e2
	v_mov_b32_e32 v21, 0xbf468865
	s_mov_b32 s1, 0x3ef5f8c8
	v_fmac_f64_e32 v[20:21], s[0:1], v[10:11]
	v_mov_b32_e32 v22, 0x70387862
	v_mov_b32_e32 v23, 0x3f7b6449
	v_fmac_f64_e32 v[22:23], v[10:11], v[20:21]
	s_mov_b32 s0, 0xacb87a1d
	v_mul_f64 v[50:51], v[22:23], v[48:49]
	s_mov_b32 s1, 0x3fd15787
	v_fmac_f64_e32 v[50:51], s[0:1], v[18:19]
	v_add_f64 v[10:11], v[18:19], -v[50:51]
	v_add_f64 v[10:11], v[10:11], -v[52:53]
	;; [unrolled: 1-line block ×4, first 2 shown]
.LBB0_15:
	s_or_b64 exec, exec, s[24:25]
                                        ; implicit-def: $vgpr10_vgpr11
.LBB0_16:
	s_andn2_saveexec_b64 s[0:1], s[22:23]
	s_cbranch_execz .LBB0_18
; %bb.17:
	s_mov_b32 s22, 0x54442d15
	s_mov_b32 s23, 0x3fe921fb
	v_div_scale_f64 v[0:1], s[24:25], v[10:11], v[10:11], s[22:23]
	v_rcp_f64_e32 v[2:3], v[0:1]
	s_nop 0
	v_fma_f64 v[4:5], -v[0:1], v[2:3], 1.0
	v_fmac_f64_e32 v[2:3], v[2:3], v[4:5]
	v_fma_f64 v[4:5], -v[0:1], v[2:3], 1.0
	v_fmac_f64_e32 v[2:3], v[2:3], v[4:5]
	v_div_scale_f64 v[4:5], vcc, s[22:23], v[10:11], s[22:23]
	v_mul_f64 v[6:7], v[4:5], v[2:3]
	v_fma_f64 v[0:1], -v[0:1], v[6:7], v[4:5]
	s_nop 1
	v_div_fmas_f64 v[0:1], v[0:1], v[2:3], v[6:7]
	v_div_fixup_f64 v[0:1], v[0:1], v[10:11], s[22:23]
	s_mov_b32 s22, 0
	s_brev_b32 s23, 8
	v_mov_b32_e32 v2, 0x100
	v_cmp_gt_f64_e32 vcc, s[22:23], v[0:1]
	s_mov_b32 s22, 0x652b82fe
	s_mov_b32 s23, 0xbff71547
	v_cndmask_b32_e32 v2, 0, v2, vcc
	v_ldexp_f64 v[0:1], v[0:1], v2
	v_rsq_f64_e32 v[2:3], v[0:1]
	s_nop 0
	v_mul_f64 v[4:5], v[0:1], v[2:3]
	v_mul_f64 v[2:3], v[2:3], 0.5
	v_fma_f64 v[6:7], -v[2:3], v[4:5], 0.5
	v_fmac_f64_e32 v[4:5], v[4:5], v[6:7]
	v_fma_f64 v[20:21], -v[4:5], v[4:5], v[0:1]
	v_fmac_f64_e32 v[2:3], v[2:3], v[6:7]
	v_fmac_f64_e32 v[4:5], v[20:21], v[2:3]
	v_fma_f64 v[6:7], -v[4:5], v[4:5], v[0:1]
	v_fmac_f64_e32 v[4:5], v[6:7], v[2:3]
	v_mov_b32_e32 v2, 0xffffff80
	v_cndmask_b32_e32 v2, 0, v2, vcc
	v_ldexp_f64 v[2:3], v[4:5], v2
	v_mov_b32_e32 v4, 0x260
	v_cmp_class_f64_e32 vcc, v[0:1], v4
	v_mov_b32_e32 v4, 0xfca7ab0c
	v_mov_b32_e32 v5, 0x3e928af3
	v_cndmask_b32_e32 v49, v3, v1, vcc
	v_cndmask_b32_e32 v48, v2, v0, vcc
	v_mul_f64 v[0:1], v[10:11], s[22:23]
	s_mov_b32 s22, 0xfefa39ef
	v_rndne_f64_e32 v[0:1], v[0:1]
	s_mov_b32 s23, 0xbfe62e42
	v_fma_f64 v[2:3], v[0:1], s[22:23], -v[10:11]
	s_mov_b32 s22, 0x3b39803f
	s_mov_b32 s23, 0xbc7abc9e
	v_fmac_f64_e32 v[2:3], s[22:23], v[0:1]
	s_mov_b32 s22, 0x6a5dcb37
	s_mov_b32 s23, 0x3e5ade15
	v_fmac_f64_e32 v[4:5], s[22:23], v[2:3]
	v_mov_b32_e32 v6, 0x623fde64
	v_mov_b32_e32 v7, 0x3ec71dee
	v_fmac_f64_e32 v[6:7], v[2:3], v[4:5]
	v_mov_b32_e32 v4, 0x7c89e6b0
	v_mov_b32_e32 v5, 0x3efa0199
	;; [unrolled: 3-line block ×8, first 2 shown]
	v_fmac_f64_e32 v[4:5], v[2:3], v[6:7]
	v_fma_f64 v[4:5], v[2:3], v[4:5], 1.0
	v_fma_f64 v[2:3], v[2:3], v[4:5], 1.0
	v_cvt_i32_f64_e32 v0, v[0:1]
	s_mov_b32 s22, 0xe2ece559
	v_ldexp_f64 v[18:19], v[2:3], v0
	v_mov_b32_e32 v0, 0xc95a68be
	v_mov_b32_e32 v1, 0x3f1f6fc8
	s_mov_b32 s23, 0xbebd15ec
	v_fmac_f64_e32 v[0:1], s[22:23], v[10:11]
	v_mov_b32_e32 v2, 0xb75c6a7d
	v_mov_b32_e32 v3, 0xbf90538f
	v_fmac_f64_e32 v[2:3], v[10:11], v[0:1]
	v_mov_b32_e32 v0, 0x23a9e0cf
	v_mov_b32_e32 v1, 0x3ff227a5
	;; [unrolled: 3-line block ×6, first 2 shown]
	s_mov_b32 s23, 0xbfbe19cf
	s_mov_b32 s22, 0x34ee1a66
	v_fmac_f64_e32 v[0:1], v[10:11], v[2:3]
	v_add_f64 v[2:3], v[10:11], s[22:23]
	s_mov_b32 s23, 0x3fbe19cf
	v_div_scale_f64 v[4:5], s[24:25], v[2:3], v[2:3], s[22:23]
	v_rcp_f64_e32 v[6:7], v[4:5]
	v_mov_b32_e32 v20, 0x77a82cda
	v_mov_b32_e32 v21, 0xc118da49
	v_fmac_f64_e32 v[20:21], v[10:11], v[0:1]
	v_fma_f64 v[0:1], -v[4:5], v[6:7], 1.0
	v_fmac_f64_e32 v[6:7], v[6:7], v[0:1]
	v_fma_f64 v[0:1], -v[4:5], v[6:7], 1.0
	v_fmac_f64_e32 v[6:7], v[6:7], v[0:1]
	v_div_scale_f64 v[0:1], vcc, s[22:23], v[2:3], s[22:23]
	v_mul_f64 v[22:23], v[0:1], v[6:7]
	v_fma_f64 v[0:1], -v[4:5], v[22:23], v[0:1]
	v_mov_b32_e32 v4, 0x77e55c8b
	s_nop 0
	v_div_fmas_f64 v[0:1], v[0:1], v[6:7], v[22:23]
	v_div_fixup_f64 v[0:1], v[0:1], v[2:3], s[22:23]
	s_mov_b32 s22, 0x4b993860
	v_mov_b32_e32 v2, 0xe7ffdbf2
	v_mov_b32_e32 v3, 0x3f5213a0
	s_mov_b32 s23, 0xbef0c9b8
	v_fmac_f64_e32 v[2:3], s[22:23], v[10:11]
	v_mov_b32_e32 v5, 0xbfc334a1
	v_fmac_f64_e32 v[4:5], v[10:11], v[2:3]
	v_mov_b32_e32 v2, 0xc0e94c48
	v_mov_b32_e32 v3, 0x40251cdb
	v_fmac_f64_e32 v[2:3], v[10:11], v[4:5]
	v_mov_b32_e32 v4, 0x4647d599
	v_mov_b32_e32 v5, 0xc079a780
	v_fmac_f64_e32 v[4:5], v[10:11], v[2:3]
	v_mov_b32_e32 v2, 0xa73371c0
	v_mov_b32_e32 v3, 0x40c2cd05
	v_fmac_f64_e32 v[2:3], v[10:11], v[4:5]
	v_mov_b32_e32 v4, 0x8f075ded
	v_mov_b32_e32 v5, 0xc1009680
	v_fmac_f64_e32 v[4:5], v[10:11], v[2:3]
	v_mov_b32_e32 v2, 0xc537d8b4
	v_mov_b32_e32 v3, 0x413030d3
	s_mov_b32 s23, 0xbff13167
	s_mov_b32 s22, 0xefcf0c01
	v_fmac_f64_e32 v[2:3], v[10:11], v[4:5]
	v_add_f64 v[4:5], v[10:11], s[22:23]
	s_mov_b32 s23, 0x3ff13167
	v_div_scale_f64 v[6:7], s[24:25], v[4:5], v[4:5], s[22:23]
	v_fmac_f64_e32 v[0:1], v[20:21], v[18:19]
	v_rcp_f64_e32 v[20:21], v[6:7]
	v_mov_b32_e32 v22, 0xf6cdfc62
	v_mov_b32_e32 v23, 0xc14acb31
	v_fmac_f64_e32 v[22:23], v[10:11], v[2:3]
	v_fma_f64 v[2:3], -v[6:7], v[20:21], 1.0
	v_fmac_f64_e32 v[20:21], v[20:21], v[2:3]
	v_fma_f64 v[2:3], -v[6:7], v[20:21], 1.0
	v_fmac_f64_e32 v[20:21], v[20:21], v[2:3]
	v_div_scale_f64 v[2:3], vcc, s[22:23], v[4:5], s[22:23]
	v_mul_f64 v[26:27], v[2:3], v[20:21]
	v_fma_f64 v[2:3], -v[6:7], v[26:27], v[2:3]
	v_mov_b32_e32 v6, 0xb7139c18
	s_nop 0
	v_div_fmas_f64 v[2:3], v[2:3], v[20:21], v[26:27]
	v_div_fixup_f64 v[2:3], v[2:3], v[4:5], s[22:23]
	s_mov_b32 s22, 0xbd76181
	v_mov_b32_e32 v4, 0x92ad76d8
	v_mov_b32_e32 v5, 0x3f6609dd
	s_mov_b32 s23, 0xbf0788c4
	v_fmac_f64_e32 v[4:5], s[22:23], v[10:11]
	v_mov_b32_e32 v7, 0xbfd9aac5
	v_fmac_f64_e32 v[6:7], v[10:11], v[4:5]
	v_mov_b32_e32 v4, 0x3d72adf8
	v_mov_b32_e32 v5, 0x403bd604
	v_fmac_f64_e32 v[4:5], v[10:11], v[6:7]
	v_mov_b32_e32 v6, 0x4f0169e9
	v_mov_b32_e32 v7, 0xc09063ab
	v_fmac_f64_e32 v[6:7], v[10:11], v[4:5]
	v_mov_b32_e32 v4, 0x87fc34e
	v_mov_b32_e32 v5, 0x40d724a6
	v_fmac_f64_e32 v[4:5], v[10:11], v[6:7]
	v_mov_b32_e32 v6, 0x824fcd7b
	v_mov_b32_e32 v7, 0xc1138042
	v_fmac_f64_e32 v[6:7], v[10:11], v[4:5]
	v_mov_b32_e32 v4, 0x77c2d756
	v_mov_b32_e32 v5, 0x4141eb7e
	s_mov_b32 s23, 0xc008afff
	s_mov_b32 s22, 0xf872263f
	v_fmac_f64_e32 v[4:5], v[10:11], v[6:7]
	v_add_f64 v[6:7], v[10:11], s[22:23]
	s_mov_b32 s23, 0x4008afff
	v_div_scale_f64 v[20:21], s[24:25], v[6:7], v[6:7], s[22:23]
	v_fmac_f64_e32 v[2:3], v[22:23], v[18:19]
	;; [unrolled: 43-line block ×4, first 2 shown]
	v_rcp_f64_e32 v[28:29], v[26:27]
	v_mov_b32_e32 v30, 0xb01ab771
	v_mov_b32_e32 v31, 0xc16ebeeb
	v_fmac_f64_e32 v[30:31], v[10:11], v[20:21]
	v_fma_f64 v[20:21], -v[26:27], v[28:29], 1.0
	v_fmac_f64_e32 v[28:29], v[28:29], v[20:21]
	v_fma_f64 v[20:21], -v[26:27], v[28:29], 1.0
	v_fmac_f64_e32 v[28:29], v[28:29], v[20:21]
	v_div_scale_f64 v[20:21], vcc, s[22:23], v[22:23], s[22:23]
	v_mul_f64 v[32:33], v[20:21], v[28:29]
	v_fma_f64 v[20:21], -v[26:27], v[32:33], v[20:21]
	s_nop 1
	v_div_fmas_f64 v[20:21], v[20:21], v[28:29], v[32:33]
	v_div_fixup_f64 v[26:27], v[20:21], v[22:23], s[22:23]
	s_mov_b32 s22, 0xde79be1e
	v_mov_b32_e32 v20, 0x6fac200f
	v_mov_b32_e32 v21, 0x3e8333d8
	s_mov_b32 s23, 0xbdffafc5
	v_fmac_f64_e32 v[20:21], s[22:23], v[10:11]
	v_mov_b32_e32 v22, 0xd4d3dfad
	v_mov_b32_e32 v23, 0xbef1314a
	v_fmac_f64_e32 v[22:23], v[10:11], v[20:21]
	v_mov_b32_e32 v20, 0xe39df11
	v_mov_b32_e32 v21, 0x3f52f8a2
	;; [unrolled: 3-line block ×8, first 2 shown]
	v_fmac_f64_e32 v[20:21], v[10:11], v[22:23]
	s_mov_b32 s22, 0x2c35b4c1
	v_fmac_f64_e32 v[26:27], v[30:31], v[18:19]
	v_mul_f64 v[30:31], v[18:19], v[20:21]
	s_mov_b32 s23, 0x3ee21487
	v_fmac_f64_e32 v[30:31], s[22:23], v[48:49]
	s_mov_b32 s22, 0x63c0feb6
	v_mov_b32_e32 v20, 0xb73411fd
	v_mov_b32_e32 v21, 0x3ee10aba
	s_mov_b32 s23, 0xbe59db0b
	v_fmac_f64_e32 v[20:21], s[22:23], v[10:11]
	v_mov_b32_e32 v22, 0x8ebd8bfc
	v_mov_b32_e32 v23, 0xbf4da36c
	v_fmac_f64_e32 v[22:23], v[10:11], v[20:21]
	v_mov_b32_e32 v20, 0x34e75a00
	v_mov_b32_e32 v21, 0x3fb05324
	;; [unrolled: 3-line block ×8, first 2 shown]
	v_fmac_f64_e32 v[20:21], v[10:11], v[22:23]
	s_mov_b32 s22, 0xef7a4729
	v_mul_f64 v[54:55], v[18:19], v[20:21]
	s_mov_b32 s23, 0x3f58d728
	v_fmac_f64_e32 v[54:55], s[22:23], v[48:49]
	s_mov_b32 s22, 0x1d2c6bed
	v_mov_b32_e32 v20, 0x9b04194
	v_mov_b32_e32 v21, 0xbf595e60
	s_mov_b32 s23, 0x3ef33fca
	v_fmac_f64_e32 v[20:21], s[22:23], v[10:11]
	v_mov_b32_e32 v22, 0x40992d0d
	v_mov_b32_e32 v23, 0x3fbe575b
	v_fmac_f64_e32 v[22:23], v[10:11], v[20:21]
	v_mov_b32_e32 v20, 0x3f3b9825
	v_mov_b32_e32 v21, 0xc01ac937
	;; [unrolled: 3-line block ×7, first 2 shown]
	v_fmac_f64_e32 v[22:23], v[10:11], v[20:21]
	s_mov_b32 s22, 0x74e7187a
	v_mul_f64 v[52:53], v[22:23], v[18:19]
	s_mov_b32 s23, 0x3fa391fc
	v_fmac_f64_e32 v[52:53], s[22:23], v[48:49]
	s_mov_b32 s22, 0x41f77718
	v_mov_b32_e32 v20, 0x643c4348
	v_mov_b32_e32 v21, 0xbf624130
	s_mov_b32 s23, 0x3efd208e
	v_fmac_f64_e32 v[20:21], s[22:23], v[10:11]
	v_mov_b32_e32 v22, 0x1ff2843f
	v_mov_b32_e32 v23, 0x3fc49e31
	v_fmac_f64_e32 v[22:23], v[10:11], v[20:21]
	v_mov_b32_e32 v20, 0xf597947f
	v_mov_b32_e32 v21, 0xc021ef53
	;; [unrolled: 3-line block ×7, first 2 shown]
	v_fmac_f64_e32 v[22:23], v[10:11], v[20:21]
	s_mov_b32 s22, 0xacb87a1d
	v_mul_f64 v[50:51], v[22:23], v[18:19]
	s_mov_b32 s23, 0x3fd15787
	v_fmac_f64_e32 v[50:51], s[22:23], v[48:49]
	s_mov_b32 s22, 0xe963dc48
	s_mov_b32 s23, 0xbf941743
	v_fmac_f64_e32 v[48:49], s[22:23], v[18:19]
	v_add_f64 v[10:11], v[48:49], -v[50:51]
	v_add_f64 v[10:11], v[10:11], -v[52:53]
	;; [unrolled: 1-line block ×4, first 2 shown]
.LBB0_18:
	s_or_b64 exec, exec, s[0:1]
                                        ; implicit-def: $vgpr10_vgpr11
.LBB0_19:
	s_andn2_saveexec_b64 s[0:1], s[20:21]
	s_cbranch_execz .LBB0_21
; %bb.20:
	s_mov_b32 s20, 0
	s_mov_b32 s21, 0xc0368000
	v_add_f64 v[10:11], v[10:11], s[20:21]
	s_mov_b32 s20, 0xa145b792
	v_mov_b32_e32 v0, 0xe7d2b0fe
	v_mov_b32_e32 v1, 0x3d00a65f
	s_mov_b32 s21, 0xbcd485fe
	v_fmac_f64_e32 v[0:1], s[20:21], v[10:11]
	v_mov_b32_e32 v2, 0xd81a9f5b
	v_mov_b32_e32 v3, 0x3d4459b3
	v_fmac_f64_e32 v[2:3], v[10:11], v[0:1]
	v_mov_b32_e32 v0, 0x5dcfbb4c
	v_mov_b32_e32 v1, 0xbd878b66
	;; [unrolled: 3-line block ×8, first 2 shown]
	s_mov_b32 s20, 0x7efc761d
	v_fmac_f64_e32 v[4:5], v[10:11], v[2:3]
	v_mov_b32_e32 v0, 0xf7a311a2
	v_mov_b32_e32 v1, 0x3f757d7f
	;; [unrolled: 1-line block ×4, first 2 shown]
	s_mov_b32 s21, 0x3cb4e333
	v_fmac_f64_e32 v[0:1], v[10:11], v[4:5]
	v_fmac_f64_e32 v[2:3], s[20:21], v[10:11]
	v_mov_b32_e32 v4, 0xa96dd3cb
	v_mov_b32_e32 v5, 0x3d316816
	v_fmac_f64_e32 v[4:5], v[10:11], v[2:3]
	v_mov_b32_e32 v2, 0x9d44d214
	v_mov_b32_e32 v3, 0x3d7d063f
	v_fmac_f64_e32 v[2:3], v[10:11], v[4:5]
	v_mov_b32_e32 v4, 0x2a0c837e
	v_mov_b32_e32 v5, 0xbdbe0376
	v_fmac_f64_e32 v[4:5], v[10:11], v[2:3]
	v_mov_b32_e32 v2, 0x4f2881d6
	v_mov_b32_e32 v3, 0x3dc4653d
	v_fmac_f64_e32 v[2:3], v[10:11], v[4:5]
	v_mov_b32_e32 v4, 0xda515699
	v_mov_b32_e32 v5, 0x3e230a1a
	v_fmac_f64_e32 v[4:5], v[10:11], v[2:3]
	v_mov_b32_e32 v2, 0xfe69745d
	v_mov_b32_e32 v3, 0x3e68c866
	v_fmac_f64_e32 v[2:3], v[10:11], v[4:5]
	v_mov_b32_e32 v4, 0xdcffb936
	v_mov_b32_e32 v5, 0xbecbe1cf
	v_fmac_f64_e32 v[4:5], v[10:11], v[2:3]
	v_mov_b32_e32 v2, 0x2c973c21
	v_mov_b32_e32 v3, 0x3f19cfc6
	v_fmac_f64_e32 v[2:3], v[10:11], v[4:5]
	v_mov_b32_e32 v4, 0xa705b7a0
	v_mov_b32_e32 v5, 0xbf62d961
	v_fmac_f64_e32 v[4:5], v[10:11], v[2:3]
	v_mov_b32_e32 v2, 0x90ddaafb
	v_mov_b32_e32 v3, 0x3fa9a4ad
	s_mov_b32 s20, 0xf6e016b7
	v_fmac_f64_e32 v[2:3], v[10:11], v[4:5]
	v_mov_b32_e32 v4, 0x67ef8a26
	v_mov_b32_e32 v5, 0xbd2b8d46
	s_mov_b32 s21, 0x3ce1c017
	v_fmac_f64_e32 v[4:5], s[20:21], v[10:11]
	v_mov_b32_e32 v6, 0xdcde2a65
	v_mov_b32_e32 v7, 0x3d3ffd1a
	v_fmac_f64_e32 v[6:7], v[10:11], v[4:5]
	v_mov_b32_e32 v4, 0x978c36f2
	v_mov_b32_e32 v5, 0x3da09822
	v_fmac_f64_e32 v[4:5], v[10:11], v[6:7]
	v_mov_b32_e32 v6, 0xcec28078
	v_mov_b32_e32 v7, 0xbdda7c7b
	v_fmac_f64_e32 v[6:7], v[10:11], v[4:5]
	v_mov_b32_e32 v4, 0x48a6d24d
	v_mov_b32_e32 v5, 0xbdd6cdc4
	v_fmac_f64_e32 v[4:5], v[10:11], v[6:7]
	v_mov_b32_e32 v6, 0x9800dbc7
	v_mov_b32_e32 v7, 0x3e402deb
	v_fmac_f64_e32 v[6:7], v[10:11], v[4:5]
	v_mov_b32_e32 v4, 0xa6a2d506
	v_mov_b32_e32 v5, 0x3e921e83
	v_fmac_f64_e32 v[4:5], v[10:11], v[6:7]
	v_mov_b32_e32 v6, 0x3cec1f38
	v_mov_b32_e32 v7, 0xbeedfc4e
	v_fmac_f64_e32 v[6:7], v[10:11], v[4:5]
	v_mov_b32_e32 v4, 0x3e8b9546
	v_mov_b32_e32 v5, 0x3f38caab
	v_fmac_f64_e32 v[4:5], v[10:11], v[6:7]
	v_mov_b32_e32 v6, 0xe2bae2a0
	v_mov_b32_e32 v7, 0xbf8072ba
	v_fmac_f64_e32 v[6:7], v[10:11], v[4:5]
	v_mov_b32_e32 v4, 0xc129d400
	v_mov_b32_e32 v5, 0x3fc44fef
	s_mov_b32 s20, 0xd96f1c87
	v_fmac_f64_e32 v[4:5], v[10:11], v[6:7]
	v_mov_b32_e32 v6, 0x2ea6ebd2
	v_mov_b32_e32 v7, 0xbd45ef1c
	s_mov_b32 s21, 0x3d0e17f0
	;; [unrolled: 35-line block ×3, first 2 shown]
	v_fmac_f64_e32 v[20:21], s[20:21], v[10:11]
	v_mov_b32_e32 v22, 0x8bd3c013
	v_mov_b32_e32 v23, 0xbd5e2a15
	v_fmac_f64_e32 v[22:23], v[10:11], v[20:21]
	v_mov_b32_e32 v20, 0x30d50373
	v_mov_b32_e32 v21, 0xbdf21661
	;; [unrolled: 3-line block ×9, first 2 shown]
	s_mov_b32 s20, 0xb6a0e341
	v_fmac_f64_e32 v[22:23], v[10:11], v[20:21]
	v_mov_b32_e32 v26, 0x93255247
	v_mov_b32_e32 v27, 0x3ff193c6
	;; [unrolled: 1-line block ×4, first 2 shown]
	s_mov_b32 s21, 0xbd047fbe
	v_fmac_f64_e32 v[26:27], v[10:11], v[22:23]
	v_fmac_f64_e32 v[20:21], s[20:21], v[10:11]
	v_mov_b32_e32 v22, 0x2467f89
	v_mov_b32_e32 v23, 0x3d6b813e
	v_fmac_f64_e32 v[22:23], v[10:11], v[20:21]
	v_mov_b32_e32 v20, 0x4c62311d
	v_mov_b32_e32 v21, 0xbdbc02e9
	v_fmac_f64_e32 v[20:21], v[10:11], v[22:23]
	v_mov_b32_e32 v22, 0x5b6bc27e
	v_mov_b32_e32 v23, 0x3de454e6
	v_fmac_f64_e32 v[22:23], v[10:11], v[20:21]
	v_mov_b32_e32 v20, 0x824ee3e8
	v_mov_b32_e32 v21, 0x3e1a2ad7
	v_fmac_f64_e32 v[20:21], v[10:11], v[22:23]
	v_mov_b32_e32 v22, 0x480ce143
	v_mov_b32_e32 v23, 0x3e43c226
	v_fmac_f64_e32 v[22:23], v[10:11], v[20:21]
	v_mov_b32_e32 v20, 0x4d1ab228
	v_mov_b32_e32 v21, 0xbec26829
	v_fmac_f64_e32 v[20:21], v[10:11], v[22:23]
	v_mov_b32_e32 v22, 0x43d4f302
	v_mov_b32_e32 v23, 0x3f16b245
	v_fmac_f64_e32 v[22:23], v[10:11], v[20:21]
	v_mov_b32_e32 v20, 0x1565e33a
	v_mov_b32_e32 v21, 0xbf67290a
	v_fmac_f64_e32 v[20:21], v[10:11], v[22:23]
	v_mov_b32_e32 v48, 0x72e00ab9
	v_mov_b32_e32 v49, 0x3fc079d7
	s_mov_b32 s20, 0xbc89c281
	v_fmac_f64_e32 v[48:49], v[10:11], v[20:21]
	v_mov_b32_e32 v20, 0x862daea3
	v_mov_b32_e32 v21, 0xbd321c5c
	s_mov_b32 s21, 0x3cf8e084
	v_fmac_f64_e32 v[20:21], s[20:21], v[10:11]
	v_mov_b32_e32 v22, 0x4b9335f4
	v_mov_b32_e32 v23, 0xbd50991e
	v_fmac_f64_e32 v[22:23], v[10:11], v[20:21]
	v_mov_b32_e32 v20, 0xa4c657e5
	v_mov_b32_e32 v21, 0x3da22ab6
	v_fmac_f64_e32 v[20:21], v[10:11], v[22:23]
	v_mov_b32_e32 v22, 0x16143f9e
	v_mov_b32_e32 v23, 0x3dd95ec9
	v_fmac_f64_e32 v[22:23], v[10:11], v[20:21]
	v_mov_b32_e32 v20, 0x9a0e00f9
	v_mov_b32_e32 v21, 0xbe38666c
	v_fmac_f64_e32 v[20:21], v[10:11], v[22:23]
	v_mov_b32_e32 v22, 0xec70f4a3
	v_mov_b32_e32 v23, 0x3e80704e
	v_fmac_f64_e32 v[22:23], v[10:11], v[20:21]
	v_mov_b32_e32 v20, 0x8f11dfa7
	v_mov_b32_e32 v21, 0xbec1c6f0
	v_fmac_f64_e32 v[20:21], v[10:11], v[22:23]
	v_mov_b32_e32 v22, 0xcef0727c
	v_mov_b32_e32 v23, 0x3f063587
	v_fmac_f64_e32 v[22:23], v[10:11], v[20:21]
	v_mov_b32_e32 v20, 0x61811cb3
	v_mov_b32_e32 v21, 0xbf52bf44
	v_fmac_f64_e32 v[20:21], v[10:11], v[22:23]
	v_mov_b32_e32 v50, 0xdc9daee7
	v_mov_b32_e32 v51, 0x3fa9f033
	s_mov_b32 s20, 0x4ecd6f7c
	v_fmac_f64_e32 v[50:51], v[10:11], v[20:21]
	v_mov_b32_e32 v20, 0x3d4a79ba
	v_mov_b32_e32 v21, 0xbd2cd033
	s_mov_b32 s21, 0x3cf1fd6e
	;; [unrolled: 32-line block ×3, first 2 shown]
	v_fmac_f64_e32 v[20:21], s[20:21], v[10:11]
	v_mov_b32_e32 v22, 0xd6a677e
	v_mov_b32_e32 v23, 0x3cc6126f
	v_fmac_f64_e32 v[22:23], v[10:11], v[20:21]
	v_mov_b32_e32 v20, 0xaed5533c
	v_mov_b32_e32 v21, 0xbd033347
	;; [unrolled: 3-line block ×11, first 2 shown]
	s_mov_b32 s20, 0xd7ebac3b
	v_fmac_f64_e32 v[54:55], v[10:11], v[20:21]
	v_mov_b32_e32 v20, 0xb494a3dd
	v_mov_b32_e32 v21, 0x3bf46dfb
	s_mov_b32 s21, 0xbbbaa199
	v_fmac_f64_e32 v[20:21], s[20:21], v[10:11]
	v_mov_b32_e32 v22, 0xf30aba64
	v_mov_b32_e32 v23, 0xbc3d4619
	v_fmac_f64_e32 v[22:23], v[10:11], v[20:21]
	v_mov_b32_e32 v20, 0x6e6a47a8
	v_mov_b32_e32 v21, 0x3c835b00
	;; [unrolled: 3-line block ×12, first 2 shown]
	v_fmac_f64_e32 v[30:31], v[10:11], v[22:23]
.LBB0_21:
	s_or_b64 exec, exec, s[0:1]
                                        ; implicit-def: $vgpr10_vgpr11
.LBB0_22:
	s_andn2_saveexec_b64 s[0:1], s[18:19]
	s_cbranch_execz .LBB0_24
; %bb.23:
	s_mov_b32 s18, 0
	s_mov_b32 s19, 0xc0318000
	v_add_f64 v[10:11], v[10:11], s[18:19]
	s_mov_b32 s18, 0x5bd5d537
	v_mov_b32_e32 v0, 0xd2b66658
	v_mov_b32_e32 v1, 0x3ccc3b31
	s_mov_b32 s19, 0x3caba6f7
	v_fmac_f64_e32 v[0:1], s[18:19], v[10:11]
	v_mov_b32_e32 v2, 0xe0167c9f
	v_mov_b32_e32 v3, 0xbd225b6a
	v_fmac_f64_e32 v[2:3], v[10:11], v[0:1]
	v_mov_b32_e32 v0, 0x8dcffaa9
	v_mov_b32_e32 v1, 0xbd40b3b9
	v_fmac_f64_e32 v[0:1], v[10:11], v[2:3]
	v_mov_b32_e32 v2, 0xc45fc5cf
	v_mov_b32_e32 v3, 0x3d92cd6c
	v_fmac_f64_e32 v[2:3], v[10:11], v[0:1]
	v_mov_b32_e32 v0, 0xf0fa0d39
	v_mov_b32_e32 v1, 0x3dc274a2
	v_fmac_f64_e32 v[0:1], v[10:11], v[2:3]
	v_mov_b32_e32 v2, 0x4fb7934c
	v_mov_b32_e32 v3, 0xbe134e6c
	v_fmac_f64_e32 v[2:3], v[10:11], v[0:1]
	v_mov_b32_e32 v0, 0x8eff9965
	v_mov_b32_e32 v1, 0x3e4a709c
	v_fmac_f64_e32 v[0:1], v[10:11], v[2:3]
	v_mov_b32_e32 v2, 0x260fafc2
	v_mov_b32_e32 v3, 0xbe9ad565
	v_fmac_f64_e32 v[2:3], v[10:11], v[0:1]
	v_mov_b32_e32 v0, 0x1512f435
	v_mov_b32_e32 v1, 0x3eee7f1d
	v_fmac_f64_e32 v[0:1], v[10:11], v[2:3]
	v_mov_b32_e32 v2, 0xb10c3b61
	v_mov_b32_e32 v3, 0xbf36ee8d
	v_fmac_f64_e32 v[2:3], v[10:11], v[0:1]
	v_mov_b32_e32 v0, 0xf7274d21
	v_mov_b32_e32 v1, 0x3f7b5a0f
	s_mov_b32 s18, 0xdd29cda0
	v_fmac_f64_e32 v[0:1], v[10:11], v[2:3]
	v_mov_b32_e32 v2, 0x3b6483ef
	v_mov_b32_e32 v3, 0x3d06e330
	s_mov_b32 s19, 0x3ce243c0
	v_fmac_f64_e32 v[2:3], s[18:19], v[10:11]
	v_mov_b32_e32 v4, 0x592d939d
	v_mov_b32_e32 v5, 0xbd57d287
	v_fmac_f64_e32 v[4:5], v[10:11], v[2:3]
	v_mov_b32_e32 v2, 0x65dd014f
	v_mov_b32_e32 v3, 0xbd7c6c44
	v_fmac_f64_e32 v[2:3], v[10:11], v[4:5]
	v_mov_b32_e32 v4, 0xa6fb0e29
	v_mov_b32_e32 v5, 0x3dc8e3c6
	v_fmac_f64_e32 v[4:5], v[10:11], v[2:3]
	v_mov_b32_e32 v2, 0xfeeb09b7
	v_mov_b32_e32 v3, 0x3dfa7b72
	v_fmac_f64_e32 v[2:3], v[10:11], v[4:5]
	v_mov_b32_e32 v4, 0x5260e07d
	v_mov_b32_e32 v5, 0xbe497072
	v_fmac_f64_e32 v[4:5], v[10:11], v[2:3]
	v_mov_b32_e32 v2, 0xe210b0b1
	v_mov_b32_e32 v3, 0x3e821741
	v_fmac_f64_e32 v[2:3], v[10:11], v[4:5]
	v_mov_b32_e32 v4, 0xf24b27bc
	v_mov_b32_e32 v5, 0xbed2c816
	v_fmac_f64_e32 v[4:5], v[10:11], v[2:3]
	v_mov_b32_e32 v2, 0x201cf5a7
	v_mov_b32_e32 v3, 0x3f244f04
	v_fmac_f64_e32 v[2:3], v[10:11], v[4:5]
	v_mov_b32_e32 v4, 0x4e6c0397
	v_mov_b32_e32 v5, 0xbf6d1fe2
	v_fmac_f64_e32 v[4:5], v[10:11], v[2:3]
	v_mov_b32_e32 v2, 0x2911b19e
	v_mov_b32_e32 v3, 0x3fb0827f
	s_mov_b32 s18, 0x9b94ce7d
	v_fmac_f64_e32 v[2:3], v[10:11], v[4:5]
	;; [unrolled: 35-line block ×4, first 2 shown]
	v_mov_b32_e32 v6, 0x6d8dfa60
	v_mov_b32_e32 v7, 0x3fe1fd4d
	;; [unrolled: 1-line block ×4, first 2 shown]
	s_mov_b32 s19, 0x3d0a90dc
	v_fmac_f64_e32 v[6:7], v[10:11], v[22:23]
	v_fmac_f64_e32 v[20:21], s[18:19], v[10:11]
	v_mov_b32_e32 v22, 0x61ce1b52
	v_mov_b32_e32 v23, 0xbd911ed6
	v_fmac_f64_e32 v[22:23], v[10:11], v[20:21]
	v_mov_b32_e32 v20, 0x98767540
	v_mov_b32_e32 v21, 0xbda10e1f
	;; [unrolled: 3-line block ×11, first 2 shown]
	s_mov_b32 s18, 0xf1892add
	v_fmac_f64_e32 v[26:27], v[10:11], v[20:21]
	v_mov_b32_e32 v20, 0xd07f41a4
	v_mov_b32_e32 v21, 0xbcc91070
	s_mov_b32 s19, 0x3cdf7f29
	v_fmac_f64_e32 v[20:21], s[18:19], v[10:11]
	v_mov_b32_e32 v22, 0xf1e8a560
	v_mov_b32_e32 v23, 0xbd551d81
	v_fmac_f64_e32 v[22:23], v[10:11], v[20:21]
	v_mov_b32_e32 v20, 0x933df355
	v_mov_b32_e32 v21, 0x3d4c726d
	v_fmac_f64_e32 v[20:21], v[10:11], v[22:23]
	v_mov_b32_e32 v22, 0x9e271c57
	v_mov_b32_e32 v23, 0x3dc52f74
	v_fmac_f64_e32 v[22:23], v[10:11], v[20:21]
	v_mov_b32_e32 v20, 0xcaef88ac
	v_mov_b32_e32 v21, 0x3de415e8
	v_fmac_f64_e32 v[20:21], v[10:11], v[22:23]
	v_mov_b32_e32 v22, 0x89a6d81e
	v_mov_b32_e32 v23, 0xbe45c95e
	v_fmac_f64_e32 v[22:23], v[10:11], v[20:21]
	v_mov_b32_e32 v20, 0x42cb713f
	v_mov_b32_e32 v21, 0x3e7e681a
	v_fmac_f64_e32 v[20:21], v[10:11], v[22:23]
	v_mov_b32_e32 v22, 0x431b61c1
	v_mov_b32_e32 v23, 0xbec80ace
	v_fmac_f64_e32 v[22:23], v[10:11], v[20:21]
	v_mov_b32_e32 v20, 0x954e7629
	v_mov_b32_e32 v21, 0x3f1ff87c
	v_fmac_f64_e32 v[20:21], v[10:11], v[22:23]
	v_mov_b32_e32 v22, 0xc8e9be03
	v_mov_b32_e32 v23, 0xbf6fa52a
	s_mov_b32 s18, 0xdc4475ab
	v_fmac_f64_e32 v[22:23], v[10:11], v[20:21]
	v_mov_b32_e32 v48, 0xd5b39aab
	v_mov_b32_e32 v49, 0x3fc29922
	v_mov_b32_e32 v20, 0xa23d859
	v_mov_b32_e32 v21, 0x3ce0a9fc
	s_mov_b32 s19, 0xbcd40829
	v_fmac_f64_e32 v[48:49], v[10:11], v[22:23]
	v_fmac_f64_e32 v[20:21], s[18:19], v[10:11]
	v_mov_b32_e32 v22, 0xa5dec987
	v_mov_b32_e32 v23, 0x3d412db9
	v_fmac_f64_e32 v[22:23], v[10:11], v[20:21]
	v_mov_b32_e32 v20, 0x6e3db02e
	v_mov_b32_e32 v21, 0x3d766e65
	v_fmac_f64_e32 v[20:21], v[10:11], v[22:23]
	v_mov_b32_e32 v22, 0x49d0080b
	v_mov_b32_e32 v23, 0xbdcd5df8
	v_fmac_f64_e32 v[22:23], v[10:11], v[20:21]
	v_mov_b32_e32 v20, 0x4131e3de
	v_mov_b32_e32 v21, 0x3e052b4e
	v_fmac_f64_e32 v[20:21], v[10:11], v[22:23]
	v_mov_b32_e32 v22, 0x61375fd6
	v_mov_b32_e32 v23, 0xbe45abd9
	v_fmac_f64_e32 v[22:23], v[10:11], v[20:21]
	v_mov_b32_e32 v20, 0xa82dee53
	v_mov_b32_e32 v21, 0x3e9383ab
	v_fmac_f64_e32 v[20:21], v[10:11], v[22:23]
	v_mov_b32_e32 v22, 0x87d8e61b
	v_mov_b32_e32 v23, 0xbed9ae85
	v_fmac_f64_e32 v[22:23], v[10:11], v[20:21]
	v_mov_b32_e32 v20, 0x6ed047af
	v_mov_b32_e32 v21, 0x3f1a3de5
	v_fmac_f64_e32 v[20:21], v[10:11], v[22:23]
	v_mov_b32_e32 v22, 0xb87284f9
	v_mov_b32_e32 v23, 0xbf5d9a27
	s_mov_b32 s18, 0x62b698e2
	v_fmac_f64_e32 v[22:23], v[10:11], v[20:21]
	v_mov_b32_e32 v50, 0x6ff0913d
	v_mov_b32_e32 v51, 0x3fad9817
	v_mov_b32_e32 v20, 0x744f3bc
	v_mov_b32_e32 v21, 0x3cfe149e
	s_mov_b32 s19, 0xbcd11c41
	v_fmac_f64_e32 v[50:51], v[10:11], v[22:23]
	;; [unrolled: 35-line block ×3, first 2 shown]
	v_fmac_f64_e32 v[20:21], s[18:19], v[10:11]
	v_mov_b32_e32 v22, 0xa18918b2
	v_mov_b32_e32 v23, 0x3cf55e9f
	v_fmac_f64_e32 v[22:23], v[10:11], v[20:21]
	v_mov_b32_e32 v20, 0x43e2c15c
	v_mov_b32_e32 v21, 0xbd30fbd2
	;; [unrolled: 3-line block ×11, first 2 shown]
	s_mov_b32 s18, 0x87adc0a8
	v_fmac_f64_e32 v[54:55], v[10:11], v[20:21]
	v_mov_b32_e32 v20, 0xf57d67dc
	v_mov_b32_e32 v21, 0xbc1f58f5
	s_mov_b32 s19, 0x3bdfce7c
	v_fmac_f64_e32 v[20:21], s[18:19], v[10:11]
	v_mov_b32_e32 v22, 0xcefeb36e
	v_mov_b32_e32 v23, 0x3c5bcf8e
	v_fmac_f64_e32 v[22:23], v[10:11], v[20:21]
	v_mov_b32_e32 v20, 0x30c509b5
	v_mov_b32_e32 v21, 0xbc9a2446
	;; [unrolled: 3-line block ×13, first 2 shown]
	v_fmac_f64_e32 v[30:31], v[10:11], v[20:21]
.LBB0_24:
	s_or_b64 exec, exec, s[0:1]
                                        ; implicit-def: $vgpr10_vgpr11
.LBB0_25:
	s_andn2_saveexec_b64 s[0:1], s[16:17]
	s_cbranch_execz .LBB0_27
; %bb.26:
	s_mov_b32 s16, 0
	s_mov_b32 s17, 0xc0290000
	v_add_f64 v[10:11], v[10:11], s[16:17]
	s_mov_b32 s16, 0x4d6c9a3b
	v_mov_b32_e32 v0, 0x3d981884
	v_mov_b32_e32 v1, 0x3cc9f8e1
	s_mov_b32 s17, 0xbc8800cd
	v_fmac_f64_e32 v[0:1], s[16:17], v[10:11]
	v_mov_b32_e32 v2, 0x3b4af91c
	v_mov_b32_e32 v3, 0x3d0f6f5b
	v_fmac_f64_e32 v[2:3], v[10:11], v[0:1]
	v_mov_b32_e32 v0, 0x779e3f29
	v_mov_b32_e32 v1, 0x3d249b50
	v_fmac_f64_e32 v[0:1], v[10:11], v[2:3]
	v_mov_b32_e32 v2, 0x2769b7e0
	v_mov_b32_e32 v3, 0xbd9245f4
	v_fmac_f64_e32 v[2:3], v[10:11], v[0:1]
	v_mov_b32_e32 v0, 0xf274b5f2
	v_mov_b32_e32 v1, 0x3db94dce
	v_fmac_f64_e32 v[0:1], v[10:11], v[2:3]
	v_mov_b32_e32 v2, 0x44ffa235
	v_mov_b32_e32 v3, 0xbe11c088
	v_fmac_f64_e32 v[2:3], v[10:11], v[0:1]
	v_mov_b32_e32 v0, 0xf5e40957
	v_mov_b32_e32 v1, 0x3e657680
	v_fmac_f64_e32 v[0:1], v[10:11], v[2:3]
	v_mov_b32_e32 v2, 0xa370ab3a
	v_mov_b32_e32 v3, 0xbeaf609a
	v_fmac_f64_e32 v[2:3], v[10:11], v[0:1]
	v_mov_b32_e32 v0, 0x88880c42
	v_mov_b32_e32 v1, 0x3ef90499
	v_fmac_f64_e32 v[0:1], v[10:11], v[2:3]
	v_mov_b32_e32 v2, 0x6e384c9f
	v_mov_b32_e32 v3, 0xbf418975
	v_fmac_f64_e32 v[2:3], v[10:11], v[0:1]
	v_mov_b32_e32 v0, 0xd0812840
	v_mov_b32_e32 v1, 0x3f822118
	s_mov_b32 s16, 0xd5d25680
	v_fmac_f64_e32 v[0:1], v[10:11], v[2:3]
	v_mov_b32_e32 v2, 0x2e31aec3
	v_mov_b32_e32 v3, 0x3cfc2516
	s_mov_b32 s17, 0xbcc0706e
	v_fmac_f64_e32 v[2:3], s[16:17], v[10:11]
	v_mov_b32_e32 v4, 0x73251650
	v_mov_b32_e32 v5, 0x3d48756e
	v_fmac_f64_e32 v[4:5], v[10:11], v[2:3]
	v_mov_b32_e32 v2, 0x22a1d1ca
	v_mov_b32_e32 v3, 0x3d393b64
	v_fmac_f64_e32 v[2:3], v[10:11], v[4:5]
	v_mov_b32_e32 v4, 0x8a6a4e97
	v_mov_b32_e32 v5, 0xbdc37491
	v_fmac_f64_e32 v[4:5], v[10:11], v[2:3]
	v_mov_b32_e32 v2, 0x1dd41cf2
	v_mov_b32_e32 v3, 0x3dda4832
	v_fmac_f64_e32 v[2:3], v[10:11], v[4:5]
	v_mov_b32_e32 v4, 0xd08330f4
	v_mov_b32_e32 v5, 0xbe44fcab
	v_fmac_f64_e32 v[4:5], v[10:11], v[2:3]
	v_mov_b32_e32 v2, 0x5702a78f
	v_mov_b32_e32 v3, 0x3e9c74d9
	v_fmac_f64_e32 v[2:3], v[10:11], v[4:5]
	v_mov_b32_e32 v4, 0x24cfa980
	v_mov_b32_e32 v5, 0xbee578b7
	v_fmac_f64_e32 v[4:5], v[10:11], v[2:3]
	v_mov_b32_e32 v2, 0xc6a4ccdd
	v_mov_b32_e32 v3, 0x3f30e850
	v_fmac_f64_e32 v[2:3], v[10:11], v[4:5]
	v_mov_b32_e32 v4, 0xd1bcb01
	v_mov_b32_e32 v5, 0xbf76b8d4
	v_fmac_f64_e32 v[4:5], v[10:11], v[2:3]
	v_mov_b32_e32 v2, 0xa1d5eb5f
	v_mov_b32_e32 v3, 0x3fb63a21
	s_mov_b32 s16, 0x23164ea6
	v_fmac_f64_e32 v[2:3], v[10:11], v[4:5]
	;; [unrolled: 35-line block ×4, first 2 shown]
	v_mov_b32_e32 v20, 0xdb40a2be
	v_mov_b32_e32 v21, 0x3d2b6da6
	s_mov_b32 s17, 0xbd1942ea
	v_fmac_f64_e32 v[20:21], s[16:17], v[10:11]
	v_mov_b32_e32 v22, 0x7be99d25
	v_mov_b32_e32 v23, 0x3d9892d1
	v_fmac_f64_e32 v[22:23], v[10:11], v[20:21]
	v_mov_b32_e32 v20, 0xe548c8ce
	v_mov_b32_e32 v21, 0xbd8ac94c
	;; [unrolled: 3-line block ×11, first 2 shown]
	s_mov_b32 s16, 0xccbc4382
	v_fmac_f64_e32 v[26:27], v[10:11], v[20:21]
	v_mov_b32_e32 v20, 0x8fe1b4c0
	v_mov_b32_e32 v21, 0x3d346d07
	s_mov_b32 s17, 0x3d0438a9
	v_fmac_f64_e32 v[20:21], s[16:17], v[10:11]
	v_mov_b32_e32 v22, 0x2b3a695b
	v_mov_b32_e32 v23, 0x3d307872
	v_fmac_f64_e32 v[22:23], v[10:11], v[20:21]
	v_mov_b32_e32 v20, 0xfb4ad36
	v_mov_b32_e32 v21, 0xbdc7471d
	;; [unrolled: 3-line block ×9, first 2 shown]
	s_mov_b32 s16, 0x4dafe845
	v_fmac_f64_e32 v[48:49], v[10:11], v[20:21]
	v_mov_b32_e32 v20, 0x5fc3e8cf
	v_mov_b32_e32 v21, 0x3d1629f8
	s_mov_b32 s17, 0xbcd300e4
	v_fmac_f64_e32 v[20:21], s[16:17], v[10:11]
	v_mov_b32_e32 v22, 0xc885dd0a
	v_mov_b32_e32 v23, 0xbd635a41
	v_fmac_f64_e32 v[22:23], v[10:11], v[20:21]
	v_mov_b32_e32 v20, 0xb1610f8b
	v_mov_b32_e32 v21, 0x3da6132b
	;; [unrolled: 3-line block ×9, first 2 shown]
	s_mov_b32 s16, 0x61dd8f67
	v_fmac_f64_e32 v[22:23], v[10:11], v[20:21]
	v_mov_b32_e32 v50, 0xca996a01
	v_mov_b32_e32 v51, 0x3fb20129
	;; [unrolled: 1-line block ×4, first 2 shown]
	s_mov_b32 s17, 0x3cb9f134
	v_fmac_f64_e32 v[50:51], v[10:11], v[22:23]
	v_fmac_f64_e32 v[20:21], s[16:17], v[10:11]
	v_mov_b32_e32 v22, 0x275ae779
	v_mov_b32_e32 v23, 0x3d3bfe5a
	v_fmac_f64_e32 v[22:23], v[10:11], v[20:21]
	v_mov_b32_e32 v20, 0x1a07c712
	v_mov_b32_e32 v21, 0xbd7ec507
	;; [unrolled: 3-line block ×11, first 2 shown]
	s_mov_b32 s16, 0x667a3f1f
	v_fmac_f64_e32 v[52:53], v[10:11], v[20:21]
	v_mov_b32_e32 v20, 0x324f96b8
	v_mov_b32_e32 v21, 0xbc88e31e
	s_mov_b32 s17, 0x3c472a6e
	v_fmac_f64_e32 v[20:21], s[16:17], v[10:11]
	v_mov_b32_e32 v22, 0x72ff556d
	v_mov_b32_e32 v23, 0x3cc7a056
	v_fmac_f64_e32 v[22:23], v[10:11], v[20:21]
	v_mov_b32_e32 v20, 0x50bf5eff
	v_mov_b32_e32 v21, 0xbd06e3e3
	;; [unrolled: 3-line block ×13, first 2 shown]
	s_mov_b32 s16, 0x69491c8c
	v_fmac_f64_e32 v[54:55], v[10:11], v[20:21]
	v_mov_b32_e32 v20, 0x1597301d
	v_mov_b32_e32 v21, 0x3c43f1b4
	s_mov_b32 s17, 0xbc030b21
	v_fmac_f64_e32 v[20:21], s[16:17], v[10:11]
	v_mov_b32_e32 v22, 0x2430899
	v_mov_b32_e32 v23, 0xbc81ea0e
	v_fmac_f64_e32 v[22:23], v[10:11], v[20:21]
	v_mov_b32_e32 v20, 0xa787b08b
	v_mov_b32_e32 v21, 0x3cc077d2
	;; [unrolled: 3-line block ×14, first 2 shown]
	v_fmac_f64_e32 v[30:31], v[10:11], v[22:23]
.LBB0_27:
	s_or_b64 exec, exec, s[0:1]
                                        ; implicit-def: $vgpr10_vgpr11
.LBB0_28:
	s_andn2_saveexec_b64 s[0:1], s[14:15]
	s_cbranch_execz .LBB0_30
; %bb.29:
	s_mov_b32 s14, 0
	s_mov_b32 s15, 0xc01e0000
	v_add_f64 v[10:11], v[10:11], s[14:15]
	s_mov_b32 s14, 0x7b53cd06
	v_mov_b32_e32 v0, 0x3a3a91a0
	v_mov_b32_e32 v1, 0x3d4ab405
	s_mov_b32 s15, 0xbd09a193
	v_fmac_f64_e32 v[0:1], s[14:15], v[10:11]
	v_mov_b32_e32 v2, 0xa95d399e
	v_mov_b32_e32 v3, 0xbd952de5
	v_fmac_f64_e32 v[2:3], v[10:11], v[0:1]
	v_mov_b32_e32 v0, 0x7dd99203
	v_mov_b32_e32 v1, 0x3de58836
	;; [unrolled: 3-line block ×8, first 2 shown]
	s_mov_b32 s14, 0x89976343
	v_fmac_f64_e32 v[0:1], v[10:11], v[2:3]
	v_mov_b32_e32 v2, 0xcf7fb619
	v_mov_b32_e32 v3, 0x3d0ccb90
	s_mov_b32 s15, 0xbcf08912
	v_fmac_f64_e32 v[2:3], s[14:15], v[10:11]
	v_mov_b32_e32 v4, 0xc7a001d8
	v_mov_b32_e32 v5, 0xbd76cecf
	v_fmac_f64_e32 v[4:5], v[10:11], v[2:3]
	v_mov_b32_e32 v2, 0x13e51e0e
	v_mov_b32_e32 v3, 0x3db03de1
	v_fmac_f64_e32 v[2:3], v[10:11], v[4:5]
	v_mov_b32_e32 v4, 0x6b7bd0f9
	v_mov_b32_e32 v5, 0x3e02c646
	v_fmac_f64_e32 v[4:5], v[10:11], v[2:3]
	v_mov_b32_e32 v2, 0xd8250407
	v_mov_b32_e32 v3, 0xbe5a0ad7
	v_fmac_f64_e32 v[2:3], v[10:11], v[4:5]
	v_mov_b32_e32 v4, 0x3fb9d89f
	v_mov_b32_e32 v5, 0x3eab87b4
	v_fmac_f64_e32 v[4:5], v[10:11], v[2:3]
	v_mov_b32_e32 v2, 0xcaf11e3
	v_mov_b32_e32 v3, 0xbef71bc3
	v_fmac_f64_e32 v[2:3], v[10:11], v[4:5]
	v_mov_b32_e32 v4, 0x4bd145e0
	v_mov_b32_e32 v5, 0x3f4010e5
	v_fmac_f64_e32 v[4:5], v[10:11], v[2:3]
	v_mov_b32_e32 v6, 0xc8a6ce3e
	v_mov_b32_e32 v7, 0xbf82b988
	s_mov_b32 s14, 0x3d7689a9
	v_fmac_f64_e32 v[6:7], v[10:11], v[4:5]
	v_mov_b32_e32 v2, 0xad6c1b91
	v_mov_b32_e32 v3, 0x3fbf6215
	;; [unrolled: 1-line block ×4, first 2 shown]
	s_mov_b32 s15, 0x3d0f4dce
	v_fmac_f64_e32 v[2:3], v[10:11], v[6:7]
	v_fmac_f64_e32 v[4:5], s[14:15], v[10:11]
	v_mov_b32_e32 v6, 0x60872669
	v_mov_b32_e32 v7, 0x3d74b47e
	v_fmac_f64_e32 v[6:7], v[10:11], v[4:5]
	v_mov_b32_e32 v4, 0xd5c8363b
	v_mov_b32_e32 v5, 0x3de7b782
	;; [unrolled: 3-line block ×8, first 2 shown]
	s_mov_b32 s14, 0xcf4040d3
	v_fmac_f64_e32 v[20:21], v[10:11], v[6:7]
	v_mov_b32_e32 v4, 0x2a78f2e4
	v_mov_b32_e32 v5, 0x3fdbcd1b
	;; [unrolled: 1-line block ×4, first 2 shown]
	s_mov_b32 s15, 0xbd0cc80a
	v_fmac_f64_e32 v[4:5], v[10:11], v[20:21]
	v_fmac_f64_e32 v[6:7], s[14:15], v[10:11]
	v_mov_b32_e32 v20, 0x160c648b
	v_mov_b32_e32 v21, 0x3d90821d
	v_fmac_f64_e32 v[20:21], v[10:11], v[6:7]
	v_mov_b32_e32 v6, 0xc66f66ea
	v_mov_b32_e32 v7, 0xbdbdc664
	;; [unrolled: 3-line block ×10, first 2 shown]
	s_mov_b32 s14, 0x25f57856
	v_fmac_f64_e32 v[6:7], v[10:11], v[20:21]
	v_mov_b32_e32 v20, 0x8b7ba76c
	v_mov_b32_e32 v21, 0xbd8496e5
	s_mov_b32 s15, 0xbd40cf5d
	v_fmac_f64_e32 v[20:21], s[14:15], v[10:11]
	v_mov_b32_e32 v22, 0xda670191
	v_mov_b32_e32 v23, 0x3d9e2d87
	v_fmac_f64_e32 v[22:23], v[10:11], v[20:21]
	v_mov_b32_e32 v20, 0xdaac4360
	v_mov_b32_e32 v21, 0x3e04e65f
	;; [unrolled: 3-line block ×9, first 2 shown]
	s_mov_b32 s14, 0x38a5157f
	v_fmac_f64_e32 v[22:23], v[10:11], v[20:21]
	v_mov_b32_e32 v26, 0x860c711d
	v_mov_b32_e32 v27, 0x401f9897
	;; [unrolled: 1-line block ×4, first 2 shown]
	s_mov_b32 s15, 0x3d01e9e5
	v_fmac_f64_e32 v[26:27], v[10:11], v[22:23]
	v_fmac_f64_e32 v[20:21], s[14:15], v[10:11]
	v_mov_b32_e32 v22, 0xc922ff7d
	v_mov_b32_e32 v23, 0x3d94f0af
	v_fmac_f64_e32 v[22:23], v[10:11], v[20:21]
	v_mov_b32_e32 v20, 0x78af78eb
	v_mov_b32_e32 v21, 0xbdda3632
	;; [unrolled: 3-line block ×9, first 2 shown]
	s_mov_b32 s14, 0xb16f950
	v_fmac_f64_e32 v[48:49], v[10:11], v[20:21]
	v_mov_b32_e32 v20, 0xd0bb85bd
	v_mov_b32_e32 v21, 0xbd1a6043
	s_mov_b32 s15, 0x3cd6a3e8
	v_fmac_f64_e32 v[20:21], s[14:15], v[10:11]
	v_mov_b32_e32 v22, 0x42e9a33d
	v_mov_b32_e32 v23, 0x3d5bf593
	v_fmac_f64_e32 v[22:23], v[10:11], v[20:21]
	v_mov_b32_e32 v20, 0xf0ddbcb9
	v_mov_b32_e32 v21, 0xbd9e0a80
	;; [unrolled: 3-line block ×11, first 2 shown]
	s_mov_b32 s14, 0xf735ac63
	v_fmac_f64_e32 v[50:51], v[10:11], v[20:21]
	v_mov_b32_e32 v20, 0x598aa2e3
	v_mov_b32_e32 v21, 0x3d0eee09
	s_mov_b32 s15, 0xbccd93bc
	v_fmac_f64_e32 v[20:21], s[14:15], v[10:11]
	v_mov_b32_e32 v22, 0xdcee7665
	v_mov_b32_e32 v23, 0xbd4c7821
	v_fmac_f64_e32 v[22:23], v[10:11], v[20:21]
	v_mov_b32_e32 v20, 0xeb2d1e87
	v_mov_b32_e32 v21, 0x3d8ae620
	;; [unrolled: 3-line block ×11, first 2 shown]
	s_mov_b32 s14, 0x5a8dc915
	v_fmac_f64_e32 v[22:23], v[10:11], v[20:21]
	v_mov_b32_e32 v52, 0xe95dd579
	v_mov_b32_e32 v53, 0x3f9715df
	;; [unrolled: 1-line block ×4, first 2 shown]
	s_mov_b32 s15, 0xbc691454
	v_fmac_f64_e32 v[52:53], v[10:11], v[22:23]
	v_fmac_f64_e32 v[20:21], s[14:15], v[10:11]
	v_mov_b32_e32 v22, 0xa828f8e
	v_mov_b32_e32 v23, 0xbce89767
	v_fmac_f64_e32 v[22:23], v[10:11], v[20:21]
	v_mov_b32_e32 v20, 0x534d4770
	v_mov_b32_e32 v21, 0x3d273c2a
	;; [unrolled: 3-line block ×13, first 2 shown]
	s_mov_b32 s14, 0x8adfe63c
	v_fmac_f64_e32 v[22:23], v[10:11], v[20:21]
	v_mov_b32_e32 v54, 0xd53dd9d9
	v_mov_b32_e32 v55, 0x3f651898
	;; [unrolled: 1-line block ×4, first 2 shown]
	s_mov_b32 s15, 0x3c2ae52e
	v_fmac_f64_e32 v[54:55], v[10:11], v[22:23]
	v_fmac_f64_e32 v[20:21], s[14:15], v[10:11]
	v_mov_b32_e32 v22, 0x5fc613e8
	v_mov_b32_e32 v23, 0x3cab2ea6
	v_fmac_f64_e32 v[22:23], v[10:11], v[20:21]
	v_mov_b32_e32 v20, 0xa7d44235
	v_mov_b32_e32 v21, 0xbce9e948
	;; [unrolled: 3-line block ×15, first 2 shown]
	v_fmac_f64_e32 v[30:31], v[10:11], v[20:21]
.LBB0_30:
	s_or_b64 exec, exec, s[0:1]
                                        ; implicit-def: $vgpr10_vgpr11
.LBB0_31:
	s_andn2_saveexec_b64 s[0:1], s[12:13]
	s_cbranch_execz .LBB0_33
; %bb.32:
	s_mov_b32 s12, 0
	s_mov_b32 s13, 0xc0080000
	v_add_f64 v[10:11], v[10:11], s[12:13]
	s_mov_b32 s12, 0x55f799f6
	v_mov_b32_e32 v0, 0x1d9d4f9d
	v_mov_b32_e32 v1, 0x3d6ca502
	s_mov_b32 s13, 0xbd1d1111
	v_fmac_f64_e32 v[0:1], s[12:13], v[10:11]
	v_mov_b32_e32 v2, 0x76cc3729
	v_mov_b32_e32 v3, 0xbdb73ecc
	v_fmac_f64_e32 v[2:3], v[10:11], v[0:1]
	v_mov_b32_e32 v0, 0x178a4465
	v_mov_b32_e32 v1, 0x3e018471
	;; [unrolled: 3-line block ×8, first 2 shown]
	s_mov_b32 s12, 0xfaa5cf2a
	v_fmac_f64_e32 v[0:1], v[10:11], v[2:3]
	v_mov_b32_e32 v2, 0xd51bd4dd
	v_mov_b32_e32 v3, 0x3d2ea8ae
	s_mov_b32 s13, 0x3d078978
	v_fmac_f64_e32 v[2:3], s[12:13], v[10:11]
	v_mov_b32_e32 v4, 0x1244702b
	v_mov_b32_e32 v5, 0xbd953f4a
	v_fmac_f64_e32 v[4:5], v[10:11], v[2:3]
	v_mov_b32_e32 v2, 0xa23aa789
	v_mov_b32_e32 v3, 0x3ddf3e6b
	v_fmac_f64_e32 v[2:3], v[10:11], v[4:5]
	v_mov_b32_e32 v4, 0x8b5ed64a
	v_mov_b32_e32 v5, 0xbe12f915
	v_fmac_f64_e32 v[4:5], v[10:11], v[2:3]
	v_mov_b32_e32 v2, 0x7565c476
	v_mov_b32_e32 v3, 0xbe594529
	v_fmac_f64_e32 v[2:3], v[10:11], v[4:5]
	v_mov_b32_e32 v4, 0xb25f2bdb
	v_mov_b32_e32 v5, 0x3eb81efc
	v_fmac_f64_e32 v[4:5], v[10:11], v[2:3]
	v_mov_b32_e32 v2, 0x94d9eb43
	v_mov_b32_e32 v3, 0xbf0632d8
	v_fmac_f64_e32 v[2:3], v[10:11], v[4:5]
	v_mov_b32_e32 v4, 0x55f5a3c3
	v_mov_b32_e32 v5, 0x3f4de2b3
	v_fmac_f64_e32 v[4:5], v[10:11], v[2:3]
	v_mov_b32_e32 v6, 0x6c653cb6
	v_mov_b32_e32 v7, 0xbf8f3a50
	s_mov_b32 s12, 0x4de85980
	v_fmac_f64_e32 v[6:7], v[10:11], v[4:5]
	v_mov_b32_e32 v2, 0x9cb9ecc8
	v_mov_b32_e32 v3, 0x3fc688fa
	;; [unrolled: 1-line block ×4, first 2 shown]
	s_mov_b32 s13, 0xbd3369c3
	v_fmac_f64_e32 v[2:3], v[10:11], v[6:7]
	v_fmac_f64_e32 v[4:5], s[12:13], v[10:11]
	v_mov_b32_e32 v6, 0xf2dd7a38
	v_mov_b32_e32 v7, 0x3db44f52
	v_fmac_f64_e32 v[6:7], v[10:11], v[4:5]
	v_mov_b32_e32 v4, 0x4791187d
	v_mov_b32_e32 v5, 0xbdf74d13
	;; [unrolled: 3-line block ×8, first 2 shown]
	s_mov_b32 s12, 0x3637761
	v_fmac_f64_e32 v[20:21], v[10:11], v[6:7]
	v_mov_b32_e32 v4, 0xf38ae2dc
	v_mov_b32_e32 v5, 0x3fe4af93
	;; [unrolled: 1-line block ×4, first 2 shown]
	s_mov_b32 s13, 0xbd8fc79d
	v_fmac_f64_e32 v[4:5], v[10:11], v[20:21]
	v_fmac_f64_e32 v[6:7], s[12:13], v[10:11]
	v_mov_b32_e32 v20, 0x2a4a31b
	v_mov_b32_e32 v21, 0x3e0e5da0
	v_fmac_f64_e32 v[20:21], v[10:11], v[6:7]
	v_mov_b32_e32 v6, 0x9b5c090c
	v_mov_b32_e32 v7, 0x3e511723
	v_fmac_f64_e32 v[6:7], v[10:11], v[20:21]
	v_mov_b32_e32 v20, 0x965b6a18
	v_mov_b32_e32 v21, 0xbe81cb7b
	v_fmac_f64_e32 v[20:21], v[10:11], v[6:7]
	v_mov_b32_e32 v6, 0x30c352fe
	v_mov_b32_e32 v7, 0xbedfe2d6
	v_fmac_f64_e32 v[6:7], v[10:11], v[20:21]
	v_mov_b32_e32 v20, 0x5e7841e1
	v_mov_b32_e32 v21, 0xbf136ce5
	v_fmac_f64_e32 v[20:21], v[10:11], v[6:7]
	v_mov_b32_e32 v6, 0x948674a0
	v_mov_b32_e32 v7, 0x3f841988
	v_fmac_f64_e32 v[6:7], v[10:11], v[20:21]
	v_mov_b32_e32 v20, 0xbe37c1b7
	v_mov_b32_e32 v21, 0xbfcc8d15
	v_fmac_f64_e32 v[20:21], v[10:11], v[6:7]
	v_mov_b32_e32 v6, 0x63983196
	v_mov_b32_e32 v7, 0x4001b784
	s_mov_b32 s12, 0xf755955d
	v_fmac_f64_e32 v[6:7], v[10:11], v[20:21]
	v_mov_b32_e32 v20, 0xcfb72bde
	v_mov_b32_e32 v21, 0x3d8bd8b6
	s_mov_b32 s13, 0x3d69101d
	v_fmac_f64_e32 v[20:21], s[12:13], v[10:11]
	v_mov_b32_e32 v22, 0xfd18807a
	v_mov_b32_e32 v23, 0xbdd82007
	v_fmac_f64_e32 v[22:23], v[10:11], v[20:21]
	v_mov_b32_e32 v20, 0x10f96f47
	v_mov_b32_e32 v21, 0xbe241fe9
	v_fmac_f64_e32 v[20:21], v[10:11], v[22:23]
	v_mov_b32_e32 v22, 0x20d37cd2
	v_mov_b32_e32 v23, 0xbe62c630
	v_fmac_f64_e32 v[22:23], v[10:11], v[20:21]
	v_mov_b32_e32 v20, 0x623e8645
	v_mov_b32_e32 v21, 0xbe945878
	v_fmac_f64_e32 v[20:21], v[10:11], v[22:23]
	v_mov_b32_e32 v22, 0x2da5fe91
	v_mov_b32_e32 v23, 0x3eb94069
	v_fmac_f64_e32 v[22:23], v[10:11], v[20:21]
	v_mov_b32_e32 v20, 0x40233061
	v_mov_b32_e32 v21, 0x3f220c9c
	v_fmac_f64_e32 v[20:21], v[10:11], v[22:23]
	v_mov_b32_e32 v22, 0x3517b985
	v_mov_b32_e32 v23, 0x3fa819df
	v_fmac_f64_e32 v[22:23], v[10:11], v[20:21]
	v_mov_b32_e32 v20, 0x54ffbc1e
	v_mov_b32_e32 v21, 0xbff7990d
	v_fmac_f64_e32 v[20:21], v[10:11], v[22:23]
	v_mov_b32_e32 v26, 0xda1d25dd
	v_mov_b32_e32 v27, 0x402b2415
	s_mov_b32 s12, 0xfffb841e
	v_fmac_f64_e32 v[26:27], v[10:11], v[20:21]
	v_mov_b32_e32 v20, 0xeb5d7b7e
	v_mov_b32_e32 v21, 0xbd8113cf
	s_mov_b32 s13, 0x3d3d5f1c
	v_fmac_f64_e32 v[20:21], s[12:13], v[10:11]
	v_mov_b32_e32 v22, 0x2c71e7eb
	v_mov_b32_e32 v23, 0x3dc3296c
	;; [unrolled: 32-line block ×3, first 2 shown]
	v_fmac_f64_e32 v[22:23], v[10:11], v[20:21]
	v_mov_b32_e32 v20, 0xdc14464
	v_mov_b32_e32 v21, 0xbddf806b
	v_fmac_f64_e32 v[20:21], v[10:11], v[22:23]
	v_mov_b32_e32 v22, 0xd588a416
	v_mov_b32_e32 v23, 0x3e1bbfe4
	;; [unrolled: 3-line block ×10, first 2 shown]
	s_mov_b32 s12, 0xf3f0bd7f
	v_fmac_f64_e32 v[50:51], v[10:11], v[20:21]
	v_mov_b32_e32 v20, 0x659e5e5d
	v_mov_b32_e32 v21, 0x3d628612
	s_mov_b32 s13, 0xbd234c21
	v_fmac_f64_e32 v[20:21], s[12:13], v[10:11]
	v_mov_b32_e32 v22, 0x5e39078d
	v_mov_b32_e32 v23, 0xbd9f98d6
	v_fmac_f64_e32 v[22:23], v[10:11], v[20:21]
	v_mov_b32_e32 v20, 0xc8cabd83
	v_mov_b32_e32 v21, 0x3ddad6c1
	v_fmac_f64_e32 v[20:21], v[10:11], v[22:23]
	v_mov_b32_e32 v22, 0xe05786a5
	v_mov_b32_e32 v23, 0xbe155f3b
	v_fmac_f64_e32 v[22:23], v[10:11], v[20:21]
	v_mov_b32_e32 v20, 0x3353bd0
	v_mov_b32_e32 v21, 0x3e4fa07f
	v_fmac_f64_e32 v[20:21], v[10:11], v[22:23]
	v_mov_b32_e32 v22, 0x4564d772
	v_mov_b32_e32 v23, 0xbe85a1ee
	v_fmac_f64_e32 v[22:23], v[10:11], v[20:21]
	v_mov_b32_e32 v20, 0x3078ad67
	v_mov_b32_e32 v21, 0x3ebb1ec3
	v_fmac_f64_e32 v[20:21], v[10:11], v[22:23]
	v_mov_b32_e32 v22, 0x748e00ef
	v_mov_b32_e32 v23, 0xbeeecc13
	v_fmac_f64_e32 v[22:23], v[10:11], v[20:21]
	v_mov_b32_e32 v20, 0x718872f6
	v_mov_b32_e32 v21, 0x3f1f2b44
	v_fmac_f64_e32 v[20:21], v[10:11], v[22:23]
	v_mov_b32_e32 v22, 0x802c2864
	v_mov_b32_e32 v23, 0xbf4b71fb
	v_fmac_f64_e32 v[22:23], v[10:11], v[20:21]
	v_mov_b32_e32 v20, 0x4428b880
	v_mov_b32_e32 v21, 0x3f74395f
	v_fmac_f64_e32 v[20:21], v[10:11], v[22:23]
	v_mov_b32_e32 v22, 0xba2f0395
	v_mov_b32_e32 v23, 0xbf9717bb
	s_mov_b32 s12, 0xa978abcf
	v_fmac_f64_e32 v[22:23], v[10:11], v[20:21]
	v_mov_b32_e32 v52, 0xdfd40843
	v_mov_b32_e32 v53, 0x3fb1cc23
	;; [unrolled: 1-line block ×4, first 2 shown]
	s_mov_b32 s13, 0x3d076f5c
	v_fmac_f64_e32 v[52:53], v[10:11], v[22:23]
	v_fmac_f64_e32 v[20:21], s[12:13], v[10:11]
	v_mov_b32_e32 v22, 0x26e92723
	v_mov_b32_e32 v23, 0x3d8334e2
	v_fmac_f64_e32 v[22:23], v[10:11], v[20:21]
	v_mov_b32_e32 v20, 0x8b205bfb
	v_mov_b32_e32 v21, 0xbdc028d7
	;; [unrolled: 3-line block ×13, first 2 shown]
	s_mov_b32 s12, 0x9c3330dc
	v_fmac_f64_e32 v[54:55], v[10:11], v[20:21]
	v_mov_b32_e32 v20, 0x2909fdcd
	v_mov_b32_e32 v21, 0x3d0d9557
	s_mov_b32 s13, 0xbccd6d60
	v_fmac_f64_e32 v[20:21], s[12:13], v[10:11]
	v_mov_b32_e32 v22, 0xd35e0577
	v_mov_b32_e32 v23, 0xbd4a225e
	v_fmac_f64_e32 v[22:23], v[10:11], v[20:21]
	v_mov_b32_e32 v20, 0x54dbb876
	v_mov_b32_e32 v21, 0x3d86d78e
	;; [unrolled: 3-line block ×14, first 2 shown]
	v_fmac_f64_e32 v[30:31], v[10:11], v[22:23]
.LBB0_33:
	s_or_b64 exec, exec, s[0:1]
                                        ; implicit-def: $vgpr10_vgpr11
.LBB0_34:
	s_andn2_saveexec_b64 s[0:1], s[10:11]
	s_cbranch_execz .LBB0_36
; %bb.35:
	s_mov_b32 s10, 0x4c4b2782
	v_mov_b32_e32 v0, 0xceeef7be
	v_mov_b32_e32 v1, 0x3e14f04c
	s_mov_b32 s11, 0xbdc88e73
	v_fmac_f64_e32 v[0:1], s[10:11], v[10:11]
	v_mov_b32_e32 v2, 0x3589962d
	v_mov_b32_e32 v3, 0xbe5c3c9a
	v_fmac_f64_e32 v[2:3], v[10:11], v[0:1]
	v_mov_b32_e32 v0, 0x806de6de
	v_mov_b32_e32 v1, 0x3ea148ba
	;; [unrolled: 3-line block ×6, first 2 shown]
	s_mov_b32 s10, 0x494a8781
	v_fmac_f64_e32 v[0:1], v[10:11], v[2:3]
	v_mov_b32_e32 v2, 0xd76cbac1
	v_mov_b32_e32 v3, 0xbe33a3b5
	s_mov_b32 s11, 0x3dea8ab6
	v_fmac_f64_e32 v[2:3], s[10:11], v[10:11]
	v_mov_b32_e32 v4, 0xbf3f1436
	v_mov_b32_e32 v5, 0x3e5aaa50
	v_fmac_f64_e32 v[4:5], v[10:11], v[2:3]
	v_mov_b32_e32 v2, 0xf7160490
	v_mov_b32_e32 v3, 0x3eb9493b
	;; [unrolled: 3-line block ×6, first 2 shown]
	s_mov_b32 s10, 0xdc0b9945
	v_fmac_f64_e32 v[2:3], v[10:11], v[4:5]
	v_mov_b32_e32 v4, 0x58e0483e
	v_mov_b32_e32 v5, 0x3e81a7a4
	s_mov_b32 s11, 0x3e34d484
	v_fmac_f64_e32 v[4:5], s[10:11], v[10:11]
	v_mov_b32_e32 v6, 0x426d062
	v_mov_b32_e32 v7, 0xbec7358f
	v_fmac_f64_e32 v[6:7], v[10:11], v[4:5]
	v_mov_b32_e32 v4, 0xe1d683d5
	v_mov_b32_e32 v5, 0xbf140e9b
	;; [unrolled: 3-line block ×4, first 2 shown]
	s_mov_b32 s10, 0x322de142
	v_fmac_f64_e32 v[20:21], v[10:11], v[6:7]
	v_mov_b32_e32 v4, 0xedde43db
	v_mov_b32_e32 v5, 0x3feb6f60
	;; [unrolled: 1-line block ×4, first 2 shown]
	s_mov_b32 s11, 0xbe90ae9a
	v_fmac_f64_e32 v[4:5], v[10:11], v[20:21]
	v_fmac_f64_e32 v[6:7], s[10:11], v[10:11]
	v_mov_b32_e32 v20, 0x7f95e8e0
	v_mov_b32_e32 v21, 0xbea9083f
	v_fmac_f64_e32 v[20:21], v[10:11], v[6:7]
	v_mov_b32_e32 v6, 0xc1d96d0
	v_mov_b32_e32 v7, 0x3f84ba5c
	;; [unrolled: 3-line block ×4, first 2 shown]
	s_mov_b32 s10, 0x993fd021
	v_fmac_f64_e32 v[6:7], v[10:11], v[20:21]
	v_mov_b32_e32 v20, 0xb8461e0b
	v_mov_b32_e32 v21, 0x3e530947
	s_mov_b32 s11, 0xbe432a32
	v_fmac_f64_e32 v[20:21], s[10:11], v[10:11]
	v_mov_b32_e32 v22, 0x90762e0f
	v_mov_b32_e32 v23, 0x3ec981f8
	v_fmac_f64_e32 v[22:23], v[10:11], v[20:21]
	v_mov_b32_e32 v20, 0x231b8ea3
	v_mov_b32_e32 v21, 0x3f1bbda8
	;; [unrolled: 3-line block ×5, first 2 shown]
	s_mov_b32 s10, 0x6a8f6b14
	v_fmac_f64_e32 v[26:27], v[10:11], v[20:21]
	v_mov_b32_e32 v20, 0xe8962c67
	v_mov_b32_e32 v21, 0x3e64e3e3
	s_mov_b32 s11, 0xbe21821b
	v_fmac_f64_e32 v[20:21], s[10:11], v[10:11]
	v_mov_b32_e32 v22, 0x389b40bf
	v_mov_b32_e32 v23, 0xbea3a061
	v_fmac_f64_e32 v[22:23], v[10:11], v[20:21]
	v_mov_b32_e32 v20, 0xda4c23fe
	v_mov_b32_e32 v21, 0x3ee169b9
	;; [unrolled: 3-line block ×5, first 2 shown]
	s_mov_b32 s10, 0xc528cf1f
	v_fmac_f64_e32 v[22:23], v[10:11], v[20:21]
	v_mov_b32_e32 v48, 0x7014d6a9
	v_mov_b32_e32 v49, 0x3fd2e9de
	;; [unrolled: 1-line block ×4, first 2 shown]
	s_mov_b32 s11, 0x3e42878e
	v_fmac_f64_e32 v[48:49], v[10:11], v[22:23]
	v_fmac_f64_e32 v[20:21], s[10:11], v[10:11]
	v_mov_b32_e32 v22, 0xaa862d0d
	v_mov_b32_e32 v23, 0x3ebae460
	v_fmac_f64_e32 v[22:23], v[10:11], v[20:21]
	v_mov_b32_e32 v20, 0xeec59c68
	v_mov_b32_e32 v21, 0xbef1436c
	;; [unrolled: 3-line block ×7, first 2 shown]
	s_mov_b32 s10, 0x47f4f67f
	v_fmac_f64_e32 v[50:51], v[10:11], v[20:21]
	v_mov_b32_e32 v20, 0xb77b59f1
	v_mov_b32_e32 v21, 0x3e83ca6b
	s_mov_b32 s11, 0xbe443a71
	v_fmac_f64_e32 v[20:21], s[10:11], v[10:11]
	v_mov_b32_e32 v22, 0xed4ebe4d
	v_mov_b32_e32 v23, 0xbeba6ab9
	v_fmac_f64_e32 v[22:23], v[10:11], v[20:21]
	v_mov_b32_e32 v20, 0x3fd6426b
	v_mov_b32_e32 v21, 0x3eee6de9
	;; [unrolled: 3-line block ×7, first 2 shown]
	s_mov_b32 s10, 0x46fe9666
	v_fmac_f64_e32 v[22:23], v[10:11], v[20:21]
	v_mov_b32_e32 v52, 0x9d00bbc3
	v_mov_b32_e32 v53, 0x3fcc0b05
	;; [unrolled: 1-line block ×4, first 2 shown]
	s_mov_b32 s11, 0xbe64aadf
	v_fmac_f64_e32 v[52:53], v[10:11], v[22:23]
	v_fmac_f64_e32 v[20:21], s[10:11], v[10:11]
	v_mov_b32_e32 v22, 0x14e7bfe6
	v_mov_b32_e32 v23, 0xbed72ad5
	v_fmac_f64_e32 v[22:23], v[10:11], v[20:21]
	v_mov_b32_e32 v20, 0x337cc744
	v_mov_b32_e32 v21, 0x3f07c237
	v_fmac_f64_e32 v[20:21], v[10:11], v[22:23]
	v_mov_b32_e32 v22, 0xb66a3908
	v_mov_b32_e32 v23, 0xbf35235e
	v_fmac_f64_e32 v[22:23], v[10:11], v[20:21]
	v_mov_b32_e32 v20, 0xd4cebbe1
	v_mov_b32_e32 v21, 0x3f6007bf
	v_fmac_f64_e32 v[20:21], v[10:11], v[22:23]
	v_mov_b32_e32 v22, 0x4f318c80
	v_mov_b32_e32 v23, 0xbf840383
	v_fmac_f64_e32 v[22:23], v[10:11], v[20:21]
	v_mov_b32_e32 v20, 0xdf0a51a1
	v_mov_b32_e32 v21, 0x3fa36d9a
	v_fmac_f64_e32 v[20:21], v[10:11], v[22:23]
	v_mov_b32_e32 v22, 0x534825a2
	v_mov_b32_e32 v23, 0xbfba5cd9
	s_mov_b32 s10, 0xe73504c5
	v_fmac_f64_e32 v[22:23], v[10:11], v[20:21]
	v_mov_b32_e32 v54, 0xc878eed4
	v_mov_b32_e32 v55, 0x3fc32138
	;; [unrolled: 1-line block ×4, first 2 shown]
	s_mov_b32 s11, 0x3e31978a
	v_fmac_f64_e32 v[54:55], v[10:11], v[22:23]
	v_fmac_f64_e32 v[20:21], s[10:11], v[10:11]
	v_mov_b32_e32 v22, 0x745b8191
	v_mov_b32_e32 v23, 0x3ea6a0a8
	v_fmac_f64_e32 v[22:23], v[10:11], v[20:21]
	v_mov_b32_e32 v20, 0xc8379b4f
	v_mov_b32_e32 v21, 0xbed8d265
	;; [unrolled: 3-line block ×9, first 2 shown]
	v_fmac_f64_e32 v[30:31], v[10:11], v[20:21]
.LBB0_36:
	s_or_b64 exec, exec, s[0:1]
                                        ; implicit-def: $vgpr10_vgpr11
.LBB0_37:
	s_andn2_saveexec_b64 s[0:1], s[8:9]
	s_cbranch_execz .LBB0_39
; %bb.38:
	s_mov_b32 s8, 0x97367277
	v_mov_b32_e32 v0, 0x96777b17
	v_mov_b32_e32 v1, 0x3f9735bc
	s_mov_b32 s9, 0xbf61af09
	v_fmac_f64_e32 v[0:1], s[8:9], v[10:11]
	s_mov_b32 s8, 0x7ab464a1
	v_mov_b32_e32 v2, 0x911e2d57
	v_mov_b32_e32 v3, 0x3fcd9a4f
	s_mov_b32 s9, 0xbf968df3
	v_fmac_f64_e32 v[2:3], s[8:9], v[10:11]
	;; [unrolled: 5-line block ×10, first 2 shown]
.LBB0_39:
	s_or_b64 exec, exec, s[0:1]
	scratch_store_dwordx4 off, v[0:3], s33 offset:192
	scratch_store_dwordx4 off, v[48:51], s33 offset:256
	;; [unrolled: 1-line block ×4, first 2 shown]
	scratch_store_dwordx2 off, v[26:27], s33 offset:224
	scratch_store_dwordx2 off, v[30:31], s33 offset:288
.LBB0_40:
	s_or_b64 exec, exec, s[6:7]
                                        ; implicit-def: $vgpr10_vgpr11
.LBB0_41:
	s_andn2_saveexec_b64 s[4:5], s[4:5]
	s_cbranch_execz .LBB0_81
; %bb.42:
	scratch_load_dword v0, off, s33 offset:932 ; 4-byte Folded Reload
	s_waitcnt vmcnt(0)
	v_cmp_eq_u32_e32 vcc, 3, v0
	s_and_saveexec_b64 s[6:7], vcc
	s_cbranch_execz .LBB0_80
; %bb.43:
	s_mov_b32 s0, 0xf40d8376
	s_mov_b32 s1, 0x3e9421f5
	v_cmp_ge_f64_e32 vcc, s[0:1], v[10:11]
                                        ; implicit-def: $vgpr50_vgpr51
                                        ; implicit-def: $vgpr54_vgpr55
                                        ; implicit-def: $vgpr6_vgpr7
                                        ; implicit-def: $vgpr2_vgpr3
	s_and_saveexec_b64 s[0:1], vcc
	s_xor_b64 s[0:1], exec, s[0:1]
	s_cbranch_execz .LBB0_45
; %bb.44:
	s_mov_b32 s8, 0xb50b683f
	v_mov_b32_e32 v0, 0xe05c2661
	v_mov_b32_e32 v1, 0x3fa1d3e9
	s_mov_b32 s9, 0xbf70c772
	v_fmac_f64_e32 v[0:1], s[8:9], v[10:11]
	s_mov_b32 s8, 0x14031eb8
	v_mov_b32_e32 v2, 0xc54950d9
	v_mov_b32_e32 v3, 0x3fd86b98
	s_mov_b32 s9, 0xbfa6fbdb
	v_fmac_f64_e32 v[2:3], s[8:9], v[10:11]
	;; [unrolled: 5-line block ×8, first 2 shown]
                                        ; implicit-def: $vgpr10_vgpr11
.LBB0_45:
	s_andn2_saveexec_b64 s[8:9], s[0:1]
	s_cbranch_execz .LBB0_79
; %bb.46:
	v_cmp_ge_f64_e32 vcc, 1.0, v[10:11]
                                        ; implicit-def: $vgpr50_vgpr51
                                        ; implicit-def: $vgpr54_vgpr55
                                        ; implicit-def: $vgpr6_vgpr7
                                        ; implicit-def: $vgpr2_vgpr3
	s_and_saveexec_b64 s[0:1], vcc
	s_xor_b64 s[0:1], exec, s[0:1]
	s_cbranch_execz .LBB0_48
; %bb.47:
	s_mov_b32 s10, 0x9d85fffc
	v_mov_b32_e32 v0, 0x76bd8a7f
	v_mov_b32_e32 v1, 0x3e3652e2
	s_mov_b32 s11, 0xbdead7d8
	v_fmac_f64_e32 v[0:1], s[10:11], v[10:11]
	v_mov_b32_e32 v2, 0x70702f77
	v_mov_b32_e32 v3, 0xbe7b50a6
	v_fmac_f64_e32 v[2:3], v[10:11], v[0:1]
	v_mov_b32_e32 v0, 0x81da6a55
	v_mov_b32_e32 v1, 0x3ebceb0f
	;; [unrolled: 3-line block ×6, first 2 shown]
	s_mov_b32 s10, 0xe5438f94
	v_fmac_f64_e32 v[0:1], v[10:11], v[2:3]
	v_mov_b32_e32 v2, 0xd7c8d099
	v_mov_b32_e32 v3, 0x3e94a43c
	s_mov_b32 s11, 0xbe545a71
	v_fmac_f64_e32 v[2:3], s[10:11], v[10:11]
	v_mov_b32_e32 v4, 0x32168329
	v_mov_b32_e32 v5, 0x3eb552d3
	v_fmac_f64_e32 v[4:5], v[10:11], v[2:3]
	v_mov_b32_e32 v2, 0x3234424f
	v_mov_b32_e32 v3, 0xbf2293aa
	;; [unrolled: 3-line block ×4, first 2 shown]
	s_mov_b32 s10, 0x61bd7af1
	v_fmac_f64_e32 v[6:7], v[10:11], v[4:5]
	v_mov_b32_e32 v2, 0xc54950a3
	v_mov_b32_e32 v3, 0x3fd86b98
	;; [unrolled: 1-line block ×4, first 2 shown]
	s_mov_b32 s11, 0x3e1e74e1
	v_fmac_f64_e32 v[2:3], v[10:11], v[6:7]
	v_fmac_f64_e32 v[4:5], s[10:11], v[10:11]
	v_mov_b32_e32 v6, 0xf734861
	v_mov_b32_e32 v7, 0xbe915646
	v_fmac_f64_e32 v[6:7], v[10:11], v[4:5]
	v_mov_b32_e32 v4, 0x8d7f7a06
	v_mov_b32_e32 v5, 0xbee7d543
	;; [unrolled: 3-line block ×6, first 2 shown]
	s_mov_b32 s10, 0xd8589085
	v_fmac_f64_e32 v[4:5], v[10:11], v[6:7]
	v_mov_b32_e32 v6, 0xde201477
	v_mov_b32_e32 v7, 0xbe90be0b
	s_mov_b32 s11, 0xbe6e20eb
	v_fmac_f64_e32 v[6:7], s[10:11], v[10:11]
	v_mov_b32_e32 v20, 0x8b4cb716
	v_mov_b32_e32 v21, 0x3eccc30b
	v_fmac_f64_e32 v[20:21], v[10:11], v[6:7]
	v_mov_b32_e32 v6, 0x6be0ad34
	v_mov_b32_e32 v7, 0x3f2601d0
	;; [unrolled: 3-line block ×4, first 2 shown]
	s_mov_b32 s10, 0x7f5727f9
	v_fmac_f64_e32 v[22:23], v[10:11], v[20:21]
	v_mov_b32_e32 v6, 0xf9527c50
	v_mov_b32_e32 v7, 0x4027b14e
	;; [unrolled: 1-line block ×4, first 2 shown]
	s_mov_b32 s11, 0xbe489ee9
	v_fmac_f64_e32 v[6:7], v[10:11], v[22:23]
	v_fmac_f64_e32 v[20:21], s[10:11], v[10:11]
	v_mov_b32_e32 v22, 0x9d2f3618
	v_mov_b32_e32 v23, 0xbec39234
	v_fmac_f64_e32 v[22:23], v[10:11], v[20:21]
	v_mov_b32_e32 v20, 0x986bedbd
	v_mov_b32_e32 v21, 0x3efc31b1
	v_fmac_f64_e32 v[20:21], v[10:11], v[22:23]
	v_mov_b32_e32 v22, 0x47591762
	v_mov_b32_e32 v23, 0xbf334901
	v_fmac_f64_e32 v[22:23], v[10:11], v[20:21]
	v_mov_b32_e32 v20, 0xed7a0fb9
	v_mov_b32_e32 v21, 0x3f691ccb
	v_fmac_f64_e32 v[20:21], v[10:11], v[22:23]
	v_mov_b32_e32 v22, 0xbdc94f68
	v_mov_b32_e32 v23, 0xbfa0119e
	s_mov_b32 s10, 0x22c493a0
	v_fmac_f64_e32 v[22:23], v[10:11], v[20:21]
	v_mov_b32_e32 v52, 0xb19915d
	v_mov_b32_e32 v53, 0x3fd73636
	v_mov_b32_e32 v20, 0xf147f33e
	v_mov_b32_e32 v21, 0x3e7194df
	s_mov_b32 s11, 0xbe31aeea
	v_fmac_f64_e32 v[52:53], v[10:11], v[22:23]
	v_fmac_f64_e32 v[20:21], s[10:11], v[10:11]
	v_mov_b32_e32 v22, 0x53b996de
	v_mov_b32_e32 v23, 0xbea82924
	v_fmac_f64_e32 v[22:23], v[10:11], v[20:21]
	v_mov_b32_e32 v20, 0xf8c220a0
	v_mov_b32_e32 v21, 0x3edd1966
	v_fmac_f64_e32 v[20:21], v[10:11], v[22:23]
	v_mov_b32_e32 v22, 0x239bc187
	v_mov_b32_e32 v23, 0xbf0fbd1b
	v_fmac_f64_e32 v[22:23], v[10:11], v[20:21]
	v_mov_b32_e32 v20, 0x477fa72
	v_mov_b32_e32 v21, 0x3f3f1474
	v_fmac_f64_e32 v[20:21], v[10:11], v[22:23]
	v_mov_b32_e32 v22, 0xab457905
	v_mov_b32_e32 v23, 0xbf6ac8c4
	v_fmac_f64_e32 v[22:23], v[10:11], v[20:21]
	v_mov_b32_e32 v20, 0xd4b77643
	v_mov_b32_e32 v21, 0x3f93a61e
	v_fmac_f64_e32 v[20:21], v[10:11], v[22:23]
	v_mov_b32_e32 v22, 0x94362a61
	v_mov_b32_e32 v23, 0xbfb6fd6f
	s_mov_b32 s10, 0x4f804dda
	v_fmac_f64_e32 v[22:23], v[10:11], v[20:21]
	v_mov_b32_e32 v54, 0xa2555fe
	v_mov_b32_e32 v55, 0x3fd413c5
	v_mov_b32_e32 v20, 0x4518e97f
	v_mov_b32_e32 v21, 0x3ea10526
	s_mov_b32 s11, 0xbe625821
	v_fmac_f64_e32 v[54:55], v[10:11], v[22:23]
	v_fmac_f64_e32 v[20:21], s[10:11], v[10:11]
	v_mov_b32_e32 v22, 0x778e679e
	v_mov_b32_e32 v23, 0xbed50ab3
	v_fmac_f64_e32 v[22:23], v[10:11], v[20:21]
	v_mov_b32_e32 v20, 0xb75b6a64
	v_mov_b32_e32 v21, 0x3f060a05
	;; [unrolled: 29-line block ×3, first 2 shown]
	v_fmac_f64_e32 v[20:21], v[10:11], v[22:23]
	v_mov_b32_e32 v22, 0x555d215d
	v_mov_b32_e32 v23, 0x3f0e3778
	v_fmac_f64_e32 v[22:23], v[10:11], v[20:21]
	v_mov_b32_e32 v20, 0x3c6a4ac7
	v_mov_b32_e32 v21, 0xbf3956d6
	;; [unrolled: 3-line block ×7, first 2 shown]
	v_fmac_f64_e32 v[50:51], v[10:11], v[20:21]
                                        ; implicit-def: $vgpr10_vgpr11
.LBB0_48:
	s_andn2_saveexec_b64 s[10:11], s[0:1]
	s_cbranch_execz .LBB0_78
; %bb.49:
	s_mov_b32 s0, 0
	s_mov_b32 s1, 0x40140000
	v_cmp_ge_f64_e32 vcc, s[0:1], v[10:11]
                                        ; implicit-def: $vgpr50_vgpr51
                                        ; implicit-def: $vgpr54_vgpr55
                                        ; implicit-def: $vgpr6_vgpr7
                                        ; implicit-def: $vgpr2_vgpr3
	s_and_saveexec_b64 s[0:1], vcc
	s_xor_b64 s[0:1], exec, s[0:1]
	s_cbranch_execz .LBB0_51
; %bb.50:
	s_mov_b32 s12, 0
	s_mov_b32 s13, 0xc0080000
	v_add_f64 v[10:11], v[10:11], s[12:13]
	s_mov_b32 s12, 0x73ef1aa8
	v_mov_b32_e32 v0, 0x16f3fad2
	v_mov_b32_e32 v1, 0xbd42c1ab
	s_mov_b32 s13, 0xbcdac39c
	v_fmac_f64_e32 v[0:1], s[12:13], v[10:11]
	v_mov_b32_e32 v2, 0xe14cfada
	v_mov_b32_e32 v3, 0x3d91e4c5
	v_fmac_f64_e32 v[2:3], v[10:11], v[0:1]
	v_mov_b32_e32 v0, 0xe87f0a1f
	v_mov_b32_e32 v1, 0xbdd93000
	v_fmac_f64_e32 v[0:1], v[10:11], v[2:3]
	v_mov_b32_e32 v2, 0xabb6c6ca
	v_mov_b32_e32 v3, 0x3e219500
	v_fmac_f64_e32 v[2:3], v[10:11], v[0:1]
	v_mov_b32_e32 v0, 0x18a80bc3
	v_mov_b32_e32 v1, 0xbe65a3d7
	v_fmac_f64_e32 v[0:1], v[10:11], v[2:3]
	v_mov_b32_e32 v2, 0xe17c5cbf
	v_mov_b32_e32 v3, 0x3ea8798f
	v_fmac_f64_e32 v[2:3], v[10:11], v[0:1]
	v_mov_b32_e32 v0, 0xbb52739a
	v_mov_b32_e32 v1, 0xbee9d1d9
	v_fmac_f64_e32 v[0:1], v[10:11], v[2:3]
	v_mov_b32_e32 v2, 0x48bb1113
	v_mov_b32_e32 v3, 0x3f28bef6
	v_fmac_f64_e32 v[2:3], v[10:11], v[0:1]
	v_mov_b32_e32 v4, 0xe7d9937a
	v_mov_b32_e32 v5, 0xbf64bf4e
	s_mov_b32 s12, 0x16525ec
	v_fmac_f64_e32 v[4:5], v[10:11], v[2:3]
	v_mov_b32_e32 v0, 0xd0ce077a
	v_mov_b32_e32 v1, 0x3f99b902
	v_mov_b32_e32 v2, 0xe497324a
	v_mov_b32_e32 v3, 0xbd843604
	s_mov_b32 s13, 0x3d431dd0
	v_fmac_f64_e32 v[0:1], v[10:11], v[4:5]
	v_fmac_f64_e32 v[2:3], s[12:13], v[10:11]
	v_mov_b32_e32 v4, 0x6b5bd8d9
	v_mov_b32_e32 v5, 0xbd90cea0
	v_fmac_f64_e32 v[4:5], v[10:11], v[2:3]
	v_mov_b32_e32 v2, 0x5130e4c4
	v_mov_b32_e32 v3, 0x3e07846b
	v_fmac_f64_e32 v[2:3], v[10:11], v[4:5]
	v_mov_b32_e32 v4, 0x9d0c785
	v_mov_b32_e32 v5, 0xbe4681ca
	v_fmac_f64_e32 v[4:5], v[10:11], v[2:3]
	v_mov_b32_e32 v2, 0x88a357e9
	v_mov_b32_e32 v3, 0x3e501d74
	v_fmac_f64_e32 v[2:3], v[10:11], v[4:5]
	v_mov_b32_e32 v4, 0x5794e156
	v_mov_b32_e32 v5, 0x3ecd4379
	v_fmac_f64_e32 v[4:5], v[10:11], v[2:3]
	v_mov_b32_e32 v2, 0xb27e6328
	v_mov_b32_e32 v3, 0xbf1c7e57
	v_fmac_f64_e32 v[2:3], v[10:11], v[4:5]
	v_mov_b32_e32 v4, 0xf299baff
	v_mov_b32_e32 v5, 0x3f610b19
	v_fmac_f64_e32 v[4:5], v[10:11], v[2:3]
	v_mov_b32_e32 v6, 0x1431be7c
	v_mov_b32_e32 v7, 0xbf9dd1c9
	s_mov_b32 s12, 0x770ce8c1
	v_fmac_f64_e32 v[6:7], v[10:11], v[4:5]
	v_mov_b32_e32 v2, 0x5e7c239f
	v_mov_b32_e32 v3, 0x3fd16cfa
	v_mov_b32_e32 v4, 0xf0371c25
	v_mov_b32_e32 v5, 0x3da7a18f
	s_mov_b32 s13, 0x3d61b0d0
	v_fmac_f64_e32 v[2:3], v[10:11], v[6:7]
	;; [unrolled: 32-line block ×4, first 2 shown]
	v_fmac_f64_e32 v[20:21], s[12:13], v[10:11]
	v_mov_b32_e32 v22, 0xa56bea5f
	v_mov_b32_e32 v23, 0xbdaa16c4
	v_fmac_f64_e32 v[22:23], v[10:11], v[20:21]
	v_mov_b32_e32 v20, 0xfb571d3b
	v_mov_b32_e32 v21, 0x3de99881
	;; [unrolled: 3-line block ×9, first 2 shown]
	s_mov_b32 s12, 0xb929d25
	v_fmac_f64_e32 v[22:23], v[10:11], v[20:21]
	v_mov_b32_e32 v52, 0x12c49f80
	v_mov_b32_e32 v53, 0x3fd28db3
	;; [unrolled: 1-line block ×4, first 2 shown]
	s_mov_b32 s13, 0xbd107a1c
	v_fmac_f64_e32 v[52:53], v[10:11], v[22:23]
	v_fmac_f64_e32 v[20:21], s[12:13], v[10:11]
	v_mov_b32_e32 v22, 0xd4be3196
	v_mov_b32_e32 v23, 0xbd8b6930
	v_fmac_f64_e32 v[22:23], v[10:11], v[20:21]
	v_mov_b32_e32 v20, 0xbbb72df0
	v_mov_b32_e32 v21, 0x3dc7c28b
	;; [unrolled: 3-line block ×11, first 2 shown]
	s_mov_b32 s12, 0x7c85c3be
	v_fmac_f64_e32 v[22:23], v[10:11], v[20:21]
	v_mov_b32_e32 v54, 0xee602011
	v_mov_b32_e32 v55, 0x3fc3ffe8
	;; [unrolled: 1-line block ×4, first 2 shown]
	s_mov_b32 s13, 0x3d046b6a
	v_fmac_f64_e32 v[54:55], v[10:11], v[22:23]
	v_fmac_f64_e32 v[20:21], s[12:13], v[10:11]
	v_mov_b32_e32 v22, 0xd63d76dd
	v_mov_b32_e32 v23, 0x3d80e1cf
	v_fmac_f64_e32 v[22:23], v[10:11], v[20:21]
	v_mov_b32_e32 v20, 0x228c4445
	v_mov_b32_e32 v21, 0xbdbca4ce
	;; [unrolled: 3-line block ×13, first 2 shown]
	s_mov_b32 s12, 0xaf46b5bf
	v_fmac_f64_e32 v[48:49], v[10:11], v[20:21]
	v_mov_b32_e32 v20, 0xcdf599fb
	v_mov_b32_e32 v21, 0x3d11c5eb
	s_mov_b32 s13, 0xbcd18fa2
	v_fmac_f64_e32 v[20:21], s[12:13], v[10:11]
	v_mov_b32_e32 v22, 0xf8b17c62
	v_mov_b32_e32 v23, 0xbd4faa74
	v_fmac_f64_e32 v[22:23], v[10:11], v[20:21]
	v_mov_b32_e32 v20, 0x3d18a4de
	v_mov_b32_e32 v21, 0x3d8be9e9
	;; [unrolled: 3-line block ×14, first 2 shown]
	v_fmac_f64_e32 v[50:51], v[10:11], v[22:23]
                                        ; implicit-def: $vgpr10_vgpr11
.LBB0_51:
	s_andn2_saveexec_b64 s[12:13], s[0:1]
	s_cbranch_execz .LBB0_77
; %bb.52:
	s_mov_b32 s0, 0
	s_mov_b32 s1, 0x40240000
	v_cmp_ge_f64_e32 vcc, s[0:1], v[10:11]
                                        ; implicit-def: $vgpr50_vgpr51
                                        ; implicit-def: $vgpr54_vgpr55
                                        ; implicit-def: $vgpr6_vgpr7
                                        ; implicit-def: $vgpr2_vgpr3
	s_and_saveexec_b64 s[0:1], vcc
	s_xor_b64 s[0:1], exec, s[0:1]
	s_cbranch_execz .LBB0_54
; %bb.53:
	s_mov_b32 s14, 0
	s_mov_b32 s15, 0xc01e0000
	v_add_f64 v[10:11], v[10:11], s[14:15]
	s_mov_b32 s14, 0xb96ca4e1
	v_mov_b32_e32 v0, 0x379449e6
	v_mov_b32_e32 v1, 0xbcfc471b
	s_mov_b32 s15, 0x3cf4e80f
	v_fmac_f64_e32 v[0:1], s[14:15], v[10:11]
	v_mov_b32_e32 v2, 0xb212e494
	v_mov_b32_e32 v3, 0x3d585d02
	v_fmac_f64_e32 v[2:3], v[10:11], v[0:1]
	v_mov_b32_e32 v0, 0x85d0e282
	v_mov_b32_e32 v1, 0xbdc017b5
	v_fmac_f64_e32 v[0:1], v[10:11], v[2:3]
	v_mov_b32_e32 v2, 0x20b46e8f
	v_mov_b32_e32 v3, 0x3e017d86
	v_fmac_f64_e32 v[2:3], v[10:11], v[0:1]
	v_mov_b32_e32 v0, 0x7d148c01
	v_mov_b32_e32 v1, 0xbe456a90
	v_fmac_f64_e32 v[0:1], v[10:11], v[2:3]
	v_mov_b32_e32 v2, 0x626886ed
	v_mov_b32_e32 v3, 0x3e8febf5
	v_fmac_f64_e32 v[2:3], v[10:11], v[0:1]
	v_mov_b32_e32 v0, 0xd8dcb6c0
	v_mov_b32_e32 v1, 0xbed34e73
	v_fmac_f64_e32 v[0:1], v[10:11], v[2:3]
	v_mov_b32_e32 v2, 0xf51716df
	v_mov_b32_e32 v3, 0x3f161818
	v_fmac_f64_e32 v[2:3], v[10:11], v[0:1]
	v_mov_b32_e32 v4, 0x10610d72
	v_mov_b32_e32 v5, 0xbf569b6e
	s_mov_b32 s14, 0xed042746
	v_fmac_f64_e32 v[4:5], v[10:11], v[2:3]
	v_mov_b32_e32 v0, 0xcfc3e782
	v_mov_b32_e32 v1, 0x3f911020
	;; [unrolled: 1-line block ×4, first 2 shown]
	s_mov_b32 s15, 0x3d208cb6
	v_fmac_f64_e32 v[0:1], v[10:11], v[4:5]
	v_fmac_f64_e32 v[2:3], s[14:15], v[10:11]
	v_mov_b32_e32 v4, 0xed268d58
	v_mov_b32_e32 v5, 0xbdafce06
	v_fmac_f64_e32 v[4:5], v[10:11], v[2:3]
	v_mov_b32_e32 v2, 0x6b39c22f
	v_mov_b32_e32 v3, 0xbd9b0b55
	;; [unrolled: 3-line block ×8, first 2 shown]
	s_mov_b32 s14, 0xcf82f6da
	v_fmac_f64_e32 v[6:7], v[10:11], v[4:5]
	v_mov_b32_e32 v2, 0x2617036f
	v_mov_b32_e32 v3, 0x3fc6619c
	;; [unrolled: 1-line block ×4, first 2 shown]
	s_mov_b32 s15, 0x3d20861e
	v_fmac_f64_e32 v[2:3], v[10:11], v[6:7]
	v_fmac_f64_e32 v[4:5], s[14:15], v[10:11]
	v_mov_b32_e32 v6, 0x90d17054
	v_mov_b32_e32 v7, 0xbd87b644
	v_fmac_f64_e32 v[6:7], v[10:11], v[4:5]
	v_mov_b32_e32 v4, 0x2cb7b732
	v_mov_b32_e32 v5, 0x3ddc3b74
	;; [unrolled: 3-line block ×10, first 2 shown]
	s_mov_b32 s14, 0x1f1730cf
	v_fmac_f64_e32 v[4:5], v[10:11], v[6:7]
	v_mov_b32_e32 v6, 0x51e5a9ff
	v_mov_b32_e32 v7, 0x3d6b0e07
	s_mov_b32 s15, 0xbd124374
	v_fmac_f64_e32 v[6:7], s[14:15], v[10:11]
	v_mov_b32_e32 v20, 0x6dff15b4
	v_mov_b32_e32 v21, 0x3d9959b4
	v_fmac_f64_e32 v[20:21], v[10:11], v[6:7]
	v_mov_b32_e32 v6, 0xb9328db2
	v_mov_b32_e32 v7, 0xbde2f9ad
	;; [unrolled: 3-line block ×10, first 2 shown]
	s_mov_b32 s14, 0x9848e494
	v_fmac_f64_e32 v[22:23], v[10:11], v[20:21]
	v_mov_b32_e32 v6, 0xde362d25
	v_mov_b32_e32 v7, 0x401072c3
	;; [unrolled: 1-line block ×4, first 2 shown]
	s_mov_b32 s15, 0xbcdde72b
	v_fmac_f64_e32 v[6:7], v[10:11], v[22:23]
	v_fmac_f64_e32 v[20:21], s[14:15], v[10:11]
	v_mov_b32_e32 v22, 0x6261858e
	v_mov_b32_e32 v23, 0xbd701056
	v_fmac_f64_e32 v[22:23], v[10:11], v[20:21]
	v_mov_b32_e32 v20, 0xb7847367
	v_mov_b32_e32 v21, 0x3daedc1c
	;; [unrolled: 3-line block ×9, first 2 shown]
	s_mov_b32 s14, 0x792055fd
	v_fmac_f64_e32 v[22:23], v[10:11], v[20:21]
	v_mov_b32_e32 v52, 0x6edd4e3b
	v_mov_b32_e32 v53, 0x3fcd0460
	;; [unrolled: 1-line block ×4, first 2 shown]
	s_mov_b32 s15, 0xbcb9be14
	v_fmac_f64_e32 v[52:53], v[10:11], v[22:23]
	v_fmac_f64_e32 v[20:21], s[14:15], v[10:11]
	v_mov_b32_e32 v22, 0x2dde47eb
	v_mov_b32_e32 v23, 0xbd3b2ea0
	v_fmac_f64_e32 v[22:23], v[10:11], v[20:21]
	v_mov_b32_e32 v20, 0xde28b0e4
	v_mov_b32_e32 v21, 0x3d7a86d1
	;; [unrolled: 3-line block ×11, first 2 shown]
	s_mov_b32 s14, 0x876af24e
	v_fmac_f64_e32 v[22:23], v[10:11], v[20:21]
	v_mov_b32_e32 v54, 0xdabf427e
	v_mov_b32_e32 v55, 0x3fb5c3fd
	;; [unrolled: 1-line block ×4, first 2 shown]
	s_mov_b32 s15, 0x3ca7bdec
	v_fmac_f64_e32 v[54:55], v[10:11], v[22:23]
	v_fmac_f64_e32 v[20:21], s[14:15], v[10:11]
	v_mov_b32_e32 v22, 0xeded0231
	v_mov_b32_e32 v23, 0x3d25545d
	v_fmac_f64_e32 v[22:23], v[10:11], v[20:21]
	v_mov_b32_e32 v20, 0x20c6b4c3
	v_mov_b32_e32 v21, 0xbd6361fe
	;; [unrolled: 3-line block ×13, first 2 shown]
	s_mov_b32 s14, 0xb3b9451b
	v_fmac_f64_e32 v[48:49], v[10:11], v[20:21]
	v_mov_b32_e32 v20, 0x403745f
	v_mov_b32_e32 v21, 0x3cb28863
	s_mov_b32 s15, 0xbc71f3de
	v_fmac_f64_e32 v[20:21], s[14:15], v[10:11]
	v_mov_b32_e32 v22, 0x5b5b95d9
	v_mov_b32_e32 v23, 0xbcf05531
	v_fmac_f64_e32 v[22:23], v[10:11], v[20:21]
	v_mov_b32_e32 v20, 0x37a1331c
	v_mov_b32_e32 v21, 0x3d2d780c
	;; [unrolled: 3-line block ×14, first 2 shown]
	v_fmac_f64_e32 v[50:51], v[10:11], v[22:23]
                                        ; implicit-def: $vgpr10_vgpr11
.LBB0_54:
	s_andn2_saveexec_b64 s[14:15], s[0:1]
	s_cbranch_execz .LBB0_76
; %bb.55:
	s_mov_b32 s0, 0
	s_mov_b32 s1, 0x402e0000
	v_cmp_ge_f64_e32 vcc, s[0:1], v[10:11]
                                        ; implicit-def: $vgpr50_vgpr51
                                        ; implicit-def: $vgpr54_vgpr55
                                        ; implicit-def: $vgpr6_vgpr7
                                        ; implicit-def: $vgpr2_vgpr3
	s_and_saveexec_b64 s[0:1], vcc
	s_xor_b64 s[0:1], exec, s[0:1]
	s_cbranch_execz .LBB0_57
; %bb.56:
	s_mov_b32 s16, 0
	s_mov_b32 s17, 0xc0290000
	v_add_f64 v[26:27], v[10:11], s[16:17]
	s_mov_b32 s16, 0x936c32ff
	v_mov_b32_e32 v0, 0x328c27bd
	v_mov_b32_e32 v1, 0x3cccf39d
	s_mov_b32 s17, 0x3c8c86fc
	v_fmac_f64_e32 v[0:1], s[16:17], v[26:27]
	v_mov_b32_e32 v2, 0x48e701c6
	v_mov_b32_e32 v3, 0xbcf9375a
	v_fmac_f64_e32 v[2:3], v[26:27], v[0:1]
	v_mov_b32_e32 v0, 0xfbffcf3e
	v_mov_b32_e32 v1, 0xbd43673c
	;; [unrolled: 3-line block ×10, first 2 shown]
	s_mov_b32 s16, 0x2f2cdc3f
	v_fmac_f64_e32 v[4:5], v[26:27], v[2:3]
	v_mov_b32_e32 v0, 0x18b2a590
	v_mov_b32_e32 v1, 0x3f8762cf
	;; [unrolled: 1-line block ×4, first 2 shown]
	s_mov_b32 s17, 0x3cc1a04c
	v_fmac_f64_e32 v[0:1], v[26:27], v[4:5]
	v_fmac_f64_e32 v[2:3], s[16:17], v[26:27]
	v_mov_b32_e32 v4, 0x5ae5bc67
	v_mov_b32_e32 v5, 0xbd2ea8e3
	v_fmac_f64_e32 v[4:5], v[26:27], v[2:3]
	v_mov_b32_e32 v2, 0xd99b7863
	v_mov_b32_e32 v3, 0xbd7c6324
	v_fmac_f64_e32 v[2:3], v[26:27], v[4:5]
	v_mov_b32_e32 v4, 0x65f523af
	v_mov_b32_e32 v5, 0x3d913278
	v_fmac_f64_e32 v[4:5], v[26:27], v[2:3]
	v_mov_b32_e32 v2, 0xe54e4884
	v_mov_b32_e32 v3, 0x3dea3618
	v_fmac_f64_e32 v[2:3], v[26:27], v[4:5]
	v_mov_b32_e32 v4, 0x7d8a763
	v_mov_b32_e32 v5, 0x3e0e2f1b
	v_fmac_f64_e32 v[4:5], v[26:27], v[2:3]
	v_mov_b32_e32 v2, 0x508feddf
	v_mov_b32_e32 v3, 0xbe7008d7
	v_fmac_f64_e32 v[2:3], v[26:27], v[4:5]
	v_mov_b32_e32 v4, 0x9b765962
	v_mov_b32_e32 v5, 0x3eaf1023
	v_fmac_f64_e32 v[4:5], v[26:27], v[2:3]
	v_mov_b32_e32 v2, 0x5908bf9d
	v_mov_b32_e32 v3, 0xbef5381e
	v_fmac_f64_e32 v[2:3], v[26:27], v[4:5]
	v_mov_b32_e32 v4, 0x5383a2e3
	v_mov_b32_e32 v5, 0x3f402210
	v_fmac_f64_e32 v[4:5], v[26:27], v[2:3]
	v_mov_b32_e32 v6, 0x57d3fda3
	v_mov_b32_e32 v7, 0xbf81c91e
	s_mov_b32 s16, 0x6302ea23
	v_fmac_f64_e32 v[6:7], v[26:27], v[4:5]
	v_mov_b32_e32 v2, 0x3c40913b
	v_mov_b32_e32 v3, 0x3fbda6c5
	;; [unrolled: 1-line block ×4, first 2 shown]
	s_mov_b32 s17, 0x3d313cf2
	v_fmac_f64_e32 v[2:3], v[26:27], v[6:7]
	v_fmac_f64_e32 v[4:5], s[16:17], v[26:27]
	v_mov_b32_e32 v6, 0x21032b7a
	v_mov_b32_e32 v7, 0xbda3e750
	v_fmac_f64_e32 v[6:7], v[26:27], v[4:5]
	v_mov_b32_e32 v4, 0x1fcfb25f
	v_mov_b32_e32 v5, 0xbdca49c8
	;; [unrolled: 3-line block ×10, first 2 shown]
	s_mov_b32 s16, 0x91dfd7fc
	v_fmac_f64_e32 v[4:5], v[26:27], v[6:7]
	v_mov_b32_e32 v6, 0x725ffee7
	v_mov_b32_e32 v7, 0xbd2a9d26
	s_mov_b32 s17, 0x3d2a1682
	v_fmac_f64_e32 v[6:7], s[16:17], v[26:27]
	v_mov_b32_e32 v20, 0xbdaf84d2
	v_mov_b32_e32 v21, 0xbda60858
	v_fmac_f64_e32 v[20:21], v[26:27], v[6:7]
	v_mov_b32_e32 v6, 0xf864f1fa
	v_mov_b32_e32 v7, 0x3dd0b245
	;; [unrolled: 3-line block ×10, first 2 shown]
	s_mov_b32 s16, 0xe39e4c1
	v_fmac_f64_e32 v[22:23], v[26:27], v[20:21]
	v_mov_b32_e32 v6, 0xccde8d54
	v_mov_b32_e32 v7, 0x3ffd40f2
	;; [unrolled: 1-line block ×4, first 2 shown]
	s_mov_b32 s17, 0x3c4ac8eb
	v_fmac_f64_e32 v[6:7], v[26:27], v[22:23]
	v_fmac_f64_e32 v[20:21], s[16:17], v[26:27]
	v_mov_b32_e32 v22, 0xa9a26937
	v_mov_b32_e32 v23, 0x3cc69ac2
	v_fmac_f64_e32 v[22:23], v[26:27], v[20:21]
	v_mov_b32_e32 v20, 0x29cb45e0
	v_mov_b32_e32 v21, 0xbd041f41
	;; [unrolled: 3-line block ×13, first 2 shown]
	s_mov_b32 s16, 0x6a729bc1
	v_fmac_f64_e32 v[50:51], v[26:27], v[20:21]
	v_mov_b32_e32 v20, 0x84a0c460
	v_mov_b32_e32 v21, 0x3cc569db
	s_mov_b32 s17, 0xbc882fbf
	v_fmac_f64_e32 v[20:21], s[16:17], v[26:27]
	v_mov_b32_e32 v22, 0xf9e12faa
	v_mov_b32_e32 v23, 0xbd09de5d
	v_fmac_f64_e32 v[22:23], v[26:27], v[20:21]
	v_mov_b32_e32 v20, 0xa2d91270
	v_mov_b32_e32 v21, 0x3d4a7a1c
	;; [unrolled: 3-line block ×11, first 2 shown]
	s_mov_b32 s16, 0xcf06091d
	v_fmac_f64_e32 v[22:23], v[26:27], v[20:21]
	v_mov_b32_e32 v48, 0x5b4aa263
	v_mov_b32_e32 v49, 0x3f763691
	;; [unrolled: 1-line block ×4, first 2 shown]
	s_mov_b32 s17, 0xbcfc0650
	v_fmac_f64_e32 v[48:49], v[26:27], v[22:23]
	v_fmac_f64_e32 v[20:21], s[16:17], v[26:27]
	v_mov_b32_e32 v22, 0x39716841
	v_mov_b32_e32 v23, 0xbd68131a
	v_fmac_f64_e32 v[22:23], v[26:27], v[20:21]
	v_mov_b32_e32 v20, 0x36bc0b49
	v_mov_b32_e32 v21, 0x3db1566a
	;; [unrolled: 3-line block ×6, first 2 shown]
	s_mov_b32 s16, 0xb621ca13
	v_fmac_f64_e32 v[20:21], v[26:27], v[22:23]
	v_mov_b32_e32 v22, 0xc06dcc60
	v_mov_b32_e32 v23, 0xbef5d137
	s_mov_b32 s17, 0xbfc80b5d
	v_fmac_f64_e32 v[22:23], v[26:27], v[20:21]
	v_div_scale_f64 v[20:21], s[18:19], v[10:11], v[10:11], s[16:17]
	v_rcp_f64_e32 v[28:29], v[20:21]
	v_mov_b32_e32 v30, 0xb3d02421
	v_mov_b32_e32 v31, 0x3f308a83
	v_fmac_f64_e32 v[30:31], v[26:27], v[22:23]
	v_fma_f64 v[22:23], -v[20:21], v[28:29], 1.0
	v_fmac_f64_e32 v[28:29], v[28:29], v[22:23]
	v_fma_f64 v[22:23], -v[20:21], v[28:29], 1.0
	v_fmac_f64_e32 v[28:29], v[28:29], v[22:23]
	v_div_scale_f64 v[22:23], vcc, s[16:17], v[10:11], s[16:17]
	v_mul_f64 v[32:33], v[22:23], v[28:29]
	v_fma_f64 v[20:21], -v[20:21], v[32:33], v[22:23]
	v_mov_b32_e32 v54, 0xbbb21fff
	s_nop 0
	v_div_fmas_f64 v[20:21], v[20:21], v[28:29], v[32:33]
	v_div_fixup_f64 v[20:21], v[20:21], v[10:11], s[16:17]
	s_mov_b32 s16, 0x1930dd58
	s_mov_b32 s17, 0x3fcd6df8
	v_add_f64 v[20:21], v[20:21], s[16:17]
	v_div_scale_f64 v[22:23], s[16:17], v[10:11], v[10:11], v[20:21]
	v_rcp_f64_e32 v[28:29], v[22:23]
	v_mov_b32_e32 v32, 0x34bab59b
	v_mov_b32_e32 v33, 0xbf681fc7
	v_fmac_f64_e32 v[32:33], v[26:27], v[30:31]
	v_fma_f64 v[30:31], -v[22:23], v[28:29], 1.0
	v_fmac_f64_e32 v[28:29], v[28:29], v[30:31]
	v_fma_f64 v[30:31], -v[22:23], v[28:29], 1.0
	v_fmac_f64_e32 v[28:29], v[28:29], v[30:31]
	v_div_scale_f64 v[30:31], vcc, v[20:21], v[10:11], v[20:21]
	v_mul_f64 v[34:35], v[30:31], v[28:29]
	v_fma_f64 v[22:23], -v[22:23], v[34:35], v[30:31]
	s_mov_b32 s16, 0xa84e6e89
	s_nop 0
	v_div_fmas_f64 v[22:23], v[22:23], v[28:29], v[34:35]
	v_div_fixup_f64 v[20:21], v[22:23], v[10:11], v[20:21]
	s_mov_b32 s17, 0xbfdfee97
	v_add_f64 v[20:21], v[20:21], s[16:17]
	v_div_scale_f64 v[22:23], s[16:17], v[10:11], v[10:11], v[20:21]
	v_rcp_f64_e32 v[28:29], v[22:23]
	v_mov_b32_e32 v55, 0x3faeca9e
	v_fmac_f64_e32 v[54:55], v[26:27], v[32:33]
	s_mov_b32 s16, 0x3edd2a8f
	v_fma_f64 v[26:27], -v[22:23], v[28:29], 1.0
	v_fmac_f64_e32 v[28:29], v[28:29], v[26:27]
	v_fma_f64 v[26:27], -v[22:23], v[28:29], 1.0
	v_fmac_f64_e32 v[28:29], v[28:29], v[26:27]
	v_div_scale_f64 v[26:27], vcc, v[20:21], v[10:11], v[20:21]
	v_mul_f64 v[30:31], v[26:27], v[28:29]
	v_fma_f64 v[22:23], -v[22:23], v[30:31], v[26:27]
	s_mov_b32 s17, 0xbef6fb2b
	s_nop 0
	v_div_fmas_f64 v[22:23], v[22:23], v[28:29], v[30:31]
	v_div_fixup_f64 v[20:21], v[22:23], v[10:11], v[20:21]
	v_add_f64 v[26:27], v[20:21], s[16:17]
	s_mov_b32 s16, 0x652b82fe
	s_mov_b32 s17, 0xbff71547
	v_mul_f64 v[20:21], v[10:11], s[16:17]
	s_mov_b32 s16, 0xfefa39ef
	v_rndne_f64_e32 v[30:31], v[20:21]
	s_mov_b32 s17, 0xbfe62e42
	v_fma_f64 v[52:53], v[30:31], s[16:17], -v[10:11]
	s_mov_b32 s16, 0x3b39803f
	s_mov_b32 s17, 0xbc7abc9e
	v_fmac_f64_e32 v[52:53], s[16:17], v[30:31]
	s_mov_b32 s16, 0x6a5dcb37
	v_mov_b32_e32 v20, 0xfca7ab0c
	v_mov_b32_e32 v21, 0x3e928af3
	s_mov_b32 s17, 0x3e5ade15
	v_fmac_f64_e32 v[20:21], s[16:17], v[52:53]
	v_mov_b32_e32 v22, 0x623fde64
	v_mov_b32_e32 v23, 0x3ec71dee
	v_fmac_f64_e32 v[22:23], v[52:53], v[20:21]
	v_mov_b32_e32 v20, 0x7c89e6b0
	v_mov_b32_e32 v21, 0x3efa0199
	s_mov_b32 s16, 0x54442d15
	v_fmac_f64_e32 v[20:21], v[52:53], v[22:23]
	v_mov_b32_e32 v22, 0x14761f6e
	v_mov_b32_e32 v23, 0x3f2a01a0
	s_mov_b32 s17, 0x3fe921fb
	v_fmac_f64_e32 v[22:23], v[52:53], v[20:21]
	v_mov_b32_e32 v20, 0x1852b7b0
	v_mov_b32_e32 v21, 0x3f56c16c
	v_div_scale_f64 v[28:29], s[18:19], v[10:11], v[10:11], s[16:17]
	v_fmac_f64_e32 v[20:21], v[52:53], v[22:23]
	v_mov_b32_e32 v22, 0x11122322
	v_mov_b32_e32 v23, 0x3f811111
	v_rcp_f64_e32 v[32:33], v[28:29]
	v_fmac_f64_e32 v[22:23], v[52:53], v[20:21]
	v_mov_b32_e32 v20, 0x555502a1
	v_mov_b32_e32 v21, 0x3fa55555
	v_fmac_f64_e32 v[20:21], v[52:53], v[22:23]
	v_mov_b32_e32 v22, 0x55555511
	v_mov_b32_e32 v23, 0x3fc55555
	v_fmac_f64_e32 v[22:23], v[52:53], v[20:21]
	v_mov_b32_e32 v20, 11
	v_mov_b32_e32 v21, 0x3fe00000
	v_fmac_f64_e32 v[20:21], v[52:53], v[22:23]
	v_fma_f64 v[22:23], -v[28:29], v[32:33], 1.0
	v_fmac_f64_e32 v[32:33], v[32:33], v[22:23]
	v_fma_f64 v[22:23], -v[28:29], v[32:33], 1.0
	v_fmac_f64_e32 v[32:33], v[32:33], v[22:23]
	v_div_scale_f64 v[22:23], vcc, s[16:17], v[10:11], s[16:17]
	v_mul_f64 v[34:35], v[22:23], v[32:33]
	v_fma_f64 v[22:23], -v[28:29], v[34:35], v[22:23]
	v_fma_f64 v[20:21], v[52:53], v[20:21], 1.0
	s_nop 0
	v_div_fmas_f64 v[22:23], v[22:23], v[32:33], v[34:35]
	v_div_fixup_f64 v[10:11], v[22:23], v[10:11], s[16:17]
	s_mov_b32 s16, 0
	s_brev_b32 s17, 8
	v_mov_b32_e32 v22, 0x100
	v_cmp_gt_f64_e32 vcc, s[16:17], v[10:11]
	v_fma_f64 v[20:21], v[52:53], v[20:21], 1.0
	v_cvt_i32_f64_e32 v28, v[30:31]
	v_cndmask_b32_e32 v22, 0, v22, vcc
	v_ldexp_f64 v[10:11], v[10:11], v22
	v_rsq_f64_e32 v[22:23], v[10:11]
	v_ldexp_f64 v[20:21], v[20:21], v28
	v_mul_f64 v[28:29], v[10:11], v[22:23]
	v_mul_f64 v[22:23], v[22:23], 0.5
	v_fma_f64 v[30:31], -v[22:23], v[28:29], 0.5
	v_fmac_f64_e32 v[28:29], v[28:29], v[30:31]
	v_fma_f64 v[32:33], -v[28:29], v[28:29], v[10:11]
	v_fmac_f64_e32 v[22:23], v[22:23], v[30:31]
	v_fmac_f64_e32 v[28:29], v[32:33], v[22:23]
	v_fma_f64 v[30:31], -v[28:29], v[28:29], v[10:11]
	v_fmac_f64_e32 v[28:29], v[30:31], v[22:23]
	v_mov_b32_e32 v22, 0xffffff80
	v_cndmask_b32_e32 v22, 0, v22, vcc
	v_ldexp_f64 v[22:23], v[28:29], v22
	v_mov_b32_e32 v28, 0x260
	v_cmp_class_f64_e32 vcc, v[10:11], v28
	s_nop 1
	v_cndmask_b32_e32 v11, v23, v11, vcc
	v_cndmask_b32_e32 v10, v22, v10, vcc
	v_fmac_f64_e32 v[10:11], v[26:27], v[20:21]
	v_add_f64 v[10:11], v[10:11], -v[50:51]
	v_add_f64 v[10:11], v[10:11], -v[48:49]
	;; [unrolled: 1-line block ×3, first 2 shown]
                                        ; implicit-def: $vgpr10_vgpr11
.LBB0_57:
	s_andn2_saveexec_b64 s[16:17], s[0:1]
	s_cbranch_execz .LBB0_75
; %bb.58:
	s_mov_b32 s0, 0
	s_mov_b32 s1, 0x40340000
	v_cmp_ge_f64_e32 vcc, s[0:1], v[10:11]
                                        ; implicit-def: $vgpr50_vgpr51
                                        ; implicit-def: $vgpr54_vgpr55
                                        ; implicit-def: $vgpr6_vgpr7
                                        ; implicit-def: $vgpr2_vgpr3
	s_and_saveexec_b64 s[0:1], vcc
	s_xor_b64 s[0:1], exec, s[0:1]
	s_cbranch_execz .LBB0_60
; %bb.59:
	s_mov_b32 s18, 0x54442d15
	s_mov_b32 s19, 0x3fe921fb
	v_div_scale_f64 v[0:1], s[20:21], v[10:11], v[10:11], s[18:19]
	v_rcp_f64_e32 v[2:3], v[0:1]
	v_mov_b32_e32 v22, 0x146c126
	v_mov_b32_e32 v23, 0xbfb9f60b
	;; [unrolled: 1-line block ×3, first 2 shown]
	v_fma_f64 v[4:5], -v[0:1], v[2:3], 1.0
	v_fmac_f64_e32 v[2:3], v[2:3], v[4:5]
	v_fma_f64 v[4:5], -v[0:1], v[2:3], 1.0
	v_fmac_f64_e32 v[2:3], v[2:3], v[4:5]
	v_div_scale_f64 v[4:5], vcc, s[18:19], v[10:11], s[18:19]
	v_mul_f64 v[6:7], v[4:5], v[2:3]
	v_fma_f64 v[0:1], -v[0:1], v[6:7], v[4:5]
	v_mov_b32_e32 v51, 0x3f09e8a7
	s_nop 0
	v_div_fmas_f64 v[0:1], v[0:1], v[2:3], v[6:7]
	v_div_fixup_f64 v[0:1], v[0:1], v[10:11], s[18:19]
	s_mov_b32 s18, 0
	s_brev_b32 s19, 8
	v_mov_b32_e32 v2, 0x100
	v_cmp_gt_f64_e32 vcc, s[18:19], v[0:1]
	s_mov_b32 s18, 0
	s_mov_b32 s19, 0xc0318000
	v_cndmask_b32_e32 v2, 0, v2, vcc
	v_ldexp_f64 v[0:1], v[0:1], v2
	v_rsq_f64_e32 v[2:3], v[0:1]
	v_add_f64 v[30:31], v[10:11], s[18:19]
	s_mov_b32 s18, 0x9a0e0f07
	s_mov_b32 s19, 0x3c892c94
	v_mul_f64 v[4:5], v[0:1], v[2:3]
	v_mul_f64 v[2:3], v[2:3], 0.5
	v_fma_f64 v[6:7], -v[2:3], v[4:5], 0.5
	v_fmac_f64_e32 v[4:5], v[4:5], v[6:7]
	v_fma_f64 v[20:21], -v[4:5], v[4:5], v[0:1]
	v_fmac_f64_e32 v[2:3], v[2:3], v[6:7]
	v_fmac_f64_e32 v[4:5], v[20:21], v[2:3]
	v_fma_f64 v[6:7], -v[4:5], v[4:5], v[0:1]
	v_fmac_f64_e32 v[4:5], v[6:7], v[2:3]
	v_mov_b32_e32 v2, 0xffffff80
	v_cndmask_b32_e32 v2, 0, v2, vcc
	v_ldexp_f64 v[2:3], v[4:5], v2
	v_mov_b32_e32 v4, 0x260
	v_cmp_class_f64_e32 vcc, v[0:1], v4
	v_mov_b32_e32 v4, 0xb87bd65f
	v_mov_b32_e32 v5, 0xbf3eb69c
	v_cndmask_b32_e32 v27, v3, v1, vcc
	v_cndmask_b32_e32 v26, v2, v0, vcc
	v_mov_b32_e32 v0, 0x3b3efd91
	v_mov_b32_e32 v1, 0xbca043d2
	v_fmac_f64_e32 v[0:1], s[18:19], v[30:31]
	v_mov_b32_e32 v2, 0x1914b161
	v_mov_b32_e32 v3, 0xbcfbb24b
	v_fmac_f64_e32 v[2:3], v[30:31], v[0:1]
	v_mov_b32_e32 v0, 0x39566f7e
	v_mov_b32_e32 v1, 0x3d3061eb
	v_fmac_f64_e32 v[0:1], v[30:31], v[2:3]
	v_mov_b32_e32 v2, 0x330c2342
	v_mov_b32_e32 v3, 0x3d5ef037
	v_fmac_f64_e32 v[2:3], v[30:31], v[0:1]
	v_mov_b32_e32 v0, 0x65ee2f0a
	v_mov_b32_e32 v1, 0xbdab572d
	v_fmac_f64_e32 v[0:1], v[30:31], v[2:3]
	v_mov_b32_e32 v2, 0x8371e47a
	v_mov_b32_e32 v3, 0x3dd27254
	v_fmac_f64_e32 v[2:3], v[30:31], v[0:1]
	v_mov_b32_e32 v0, 0x3f80e0fb
	v_mov_b32_e32 v1, 0x3df0c21f
	v_fmac_f64_e32 v[0:1], v[30:31], v[2:3]
	v_mov_b32_e32 v2, 0xc59c3d44
	v_mov_b32_e32 v3, 0x3e51fdd7
	v_fmac_f64_e32 v[2:3], v[30:31], v[0:1]
	v_mov_b32_e32 v0, 0xf1a3d3fd
	v_mov_b32_e32 v1, 0xbeaf4c29
	v_fmac_f64_e32 v[0:1], v[30:31], v[2:3]
	v_mov_b32_e32 v2, 0xffc4948c
	v_mov_b32_e32 v3, 0x3ef9106c
	v_fmac_f64_e32 v[2:3], v[30:31], v[0:1]
	s_mov_b32 s18, 0x59ba863c
	v_fmac_f64_e32 v[4:5], v[30:31], v[2:3]
	v_mov_b32_e32 v0, 0x337716bf
	v_mov_b32_e32 v1, 0x3f8119b0
	;; [unrolled: 1-line block ×4, first 2 shown]
	s_mov_b32 s19, 0x3cc1f9a9
	v_fmac_f64_e32 v[0:1], v[30:31], v[4:5]
	v_fmac_f64_e32 v[2:3], s[18:19], v[30:31]
	v_mov_b32_e32 v4, 0x35f4923d
	v_mov_b32_e32 v5, 0xbd35e297
	v_fmac_f64_e32 v[4:5], v[30:31], v[2:3]
	v_mov_b32_e32 v2, 0x5759b54f
	v_mov_b32_e32 v3, 0x3d6449a5
	;; [unrolled: 3-line block ×10, first 2 shown]
	s_mov_b32 s18, 0x74e4f6e6
	v_fmac_f64_e32 v[6:7], v[30:31], v[4:5]
	v_mov_b32_e32 v2, 0x9b2718ff
	v_mov_b32_e32 v3, 0x3fb52568
	;; [unrolled: 1-line block ×4, first 2 shown]
	s_mov_b32 s19, 0x3ce13fa6
	v_fmac_f64_e32 v[2:3], v[30:31], v[6:7]
	v_fmac_f64_e32 v[4:5], s[18:19], v[30:31]
	v_mov_b32_e32 v6, 0x556f88ca
	v_mov_b32_e32 v7, 0xbd5e60ae
	v_fmac_f64_e32 v[6:7], v[30:31], v[4:5]
	v_mov_b32_e32 v4, 0x83f273d1
	v_mov_b32_e32 v5, 0x3d74df80
	;; [unrolled: 3-line block ×10, first 2 shown]
	s_mov_b32 s18, 0x58f486e5
	v_fmac_f64_e32 v[20:21], v[30:31], v[6:7]
	v_mov_b32_e32 v4, 0x9532731d
	v_mov_b32_e32 v5, 0x3fd26fb7
	;; [unrolled: 1-line block ×4, first 2 shown]
	s_mov_b32 s19, 0xbcf87c68
	v_fmac_f64_e32 v[4:5], v[30:31], v[20:21]
	v_fmac_f64_e32 v[6:7], s[18:19], v[30:31]
	v_mov_b32_e32 v20, 0x899002f2
	v_mov_b32_e32 v21, 0x3d88dcf4
	v_fmac_f64_e32 v[20:21], v[30:31], v[6:7]
	v_mov_b32_e32 v6, 0xcc2334eb
	v_mov_b32_e32 v7, 0xbdabdb14
	;; [unrolled: 3-line block ×9, first 2 shown]
	v_fmac_f64_e32 v[20:21], v[30:31], v[6:7]
	s_mov_b32 s18, 0xeccc5622
	v_fmac_f64_e32 v[22:23], v[30:31], v[20:21]
	v_mov_b32_e32 v6, 0xc62e3e5
	v_mov_b32_e32 v7, 0x3fee8d06
	;; [unrolled: 1-line block ×4, first 2 shown]
	s_mov_b32 s19, 0xbc2bec8c
	v_fmac_f64_e32 v[6:7], v[30:31], v[22:23]
	v_fmac_f64_e32 v[20:21], s[18:19], v[30:31]
	v_mov_b32_e32 v22, 0xfa22987c
	v_mov_b32_e32 v23, 0xbca0adbf
	v_fmac_f64_e32 v[22:23], v[30:31], v[20:21]
	v_mov_b32_e32 v20, 0x4ecd8a72
	v_mov_b32_e32 v21, 0x3ce5b7d6
	;; [unrolled: 3-line block ×11, first 2 shown]
	s_mov_b32 s18, 0xcf441341
	v_fmac_f64_e32 v[22:23], v[30:31], v[20:21]
	v_mov_b32_e32 v20, 0x48262558
	v_mov_b32_e32 v21, 0x3cb35d88
	s_mov_b32 s19, 0xbc8ff640
	v_fmac_f64_e32 v[50:51], v[30:31], v[22:23]
	v_fmac_f64_e32 v[20:21], s[18:19], v[30:31]
	v_mov_b32_e32 v22, 0x3cc7f543
	v_mov_b32_e32 v23, 0x3d0e6092
	v_fmac_f64_e32 v[22:23], v[30:31], v[20:21]
	v_mov_b32_e32 v20, 0x7fa9cc7e
	v_mov_b32_e32 v21, 0xbd51a506
	;; [unrolled: 3-line block ×11, first 2 shown]
	s_mov_b32 s18, 0xe9686ee0
	v_fmac_f64_e32 v[48:49], v[30:31], v[20:21]
	v_mov_b32_e32 v20, 0x577756a9
	v_mov_b32_e32 v21, 0x3cd5040b
	s_mov_b32 s19, 0xbcaae0db
	v_fmac_f64_e32 v[20:21], s[18:19], v[30:31]
	v_mov_b32_e32 v22, 0x32956878
	v_mov_b32_e32 v23, 0x3d1cdd66
	v_fmac_f64_e32 v[22:23], v[30:31], v[20:21]
	v_mov_b32_e32 v20, 0x3bf33b8f
	v_mov_b32_e32 v21, 0xbd5fa782
	;; [unrolled: 3-line block ×8, first 2 shown]
	s_mov_b32 s18, 0xb4d0174d
	v_fmac_f64_e32 v[20:21], v[30:31], v[22:23]
	v_mov_b32_e32 v22, 0xcf963c64
	v_mov_b32_e32 v23, 0x3f144aa9
	s_mov_b32 s19, 0x3fc91e26
	v_fmac_f64_e32 v[22:23], v[30:31], v[20:21]
	v_div_scale_f64 v[20:21], s[20:21], v[10:11], v[10:11], s[18:19]
	v_rcp_f64_e32 v[28:29], v[20:21]
	v_mov_b32_e32 v32, 0x238187b3
	v_mov_b32_e32 v33, 0xbf58480a
	v_fmac_f64_e32 v[32:33], v[30:31], v[22:23]
	v_fma_f64 v[22:23], -v[20:21], v[28:29], 1.0
	v_fmac_f64_e32 v[28:29], v[28:29], v[22:23]
	v_fma_f64 v[22:23], -v[20:21], v[28:29], 1.0
	v_fmac_f64_e32 v[28:29], v[28:29], v[22:23]
	v_div_scale_f64 v[22:23], vcc, s[18:19], v[10:11], s[18:19]
	v_mul_f64 v[34:35], v[22:23], v[28:29]
	v_fma_f64 v[20:21], -v[20:21], v[34:35], v[22:23]
	v_mov_b32_e32 v54, 0xbd044edd
	s_nop 0
	v_div_fmas_f64 v[20:21], v[20:21], v[28:29], v[34:35]
	v_div_fixup_f64 v[20:21], v[20:21], v[10:11], s[18:19]
	s_mov_b32 s18, 0x80245b5f
	s_mov_b32 s19, 0xbfdfce11
	v_add_f64 v[20:21], v[20:21], s[18:19]
	v_div_scale_f64 v[22:23], s[18:19], v[10:11], v[10:11], v[20:21]
	v_rcp_f64_e32 v[28:29], v[22:23]
	v_mov_b32_e32 v55, 0x3fa97d3d
	v_fmac_f64_e32 v[54:55], v[30:31], v[32:33]
	s_mov_b32 s18, 0x6403a8cf
	v_fma_f64 v[30:31], -v[22:23], v[28:29], 1.0
	v_fmac_f64_e32 v[28:29], v[28:29], v[30:31]
	v_fma_f64 v[30:31], -v[22:23], v[28:29], 1.0
	v_fmac_f64_e32 v[28:29], v[28:29], v[30:31]
	v_div_scale_f64 v[30:31], vcc, v[20:21], v[10:11], v[20:21]
	v_mul_f64 v[32:33], v[30:31], v[28:29]
	v_fma_f64 v[22:23], -v[22:23], v[32:33], v[30:31]
	s_mov_b32 s19, 0xbf0f8a14
	s_nop 0
	v_div_fmas_f64 v[22:23], v[22:23], v[28:29], v[32:33]
	v_div_fixup_f64 v[20:21], v[22:23], v[10:11], v[20:21]
	v_add_f64 v[30:31], v[20:21], s[18:19]
	s_mov_b32 s18, 0x652b82fe
	s_mov_b32 s19, 0xbff71547
	v_mul_f64 v[20:21], v[10:11], s[18:19]
	s_mov_b32 s18, 0xfefa39ef
	v_rndne_f64_e32 v[52:53], v[20:21]
	s_mov_b32 s19, 0xbfe62e42
	v_fma_f64 v[10:11], v[52:53], s[18:19], -v[10:11]
	s_mov_b32 s18, 0x3b39803f
	s_mov_b32 s19, 0xbc7abc9e
	v_fmac_f64_e32 v[10:11], s[18:19], v[52:53]
	s_mov_b32 s18, 0x6a5dcb37
	v_mov_b32_e32 v20, 0xfca7ab0c
	v_mov_b32_e32 v21, 0x3e928af3
	s_mov_b32 s19, 0x3e5ade15
	v_fmac_f64_e32 v[20:21], s[18:19], v[10:11]
	v_mov_b32_e32 v22, 0x623fde64
	v_mov_b32_e32 v23, 0x3ec71dee
	v_fmac_f64_e32 v[22:23], v[10:11], v[20:21]
	v_mov_b32_e32 v20, 0x7c89e6b0
	v_mov_b32_e32 v21, 0x3efa0199
	;; [unrolled: 3-line block ×8, first 2 shown]
	v_fmac_f64_e32 v[20:21], v[10:11], v[22:23]
	v_fma_f64 v[20:21], v[10:11], v[20:21], 1.0
	v_fma_f64 v[10:11], v[10:11], v[20:21], 1.0
	v_cvt_i32_f64_e32 v20, v[52:53]
	v_ldexp_f64 v[10:11], v[10:11], v20
	v_fmac_f64_e32 v[26:27], v[30:31], v[10:11]
	v_add_f64 v[10:11], v[26:27], -v[54:55]
	v_add_f64 v[10:11], v[10:11], -v[48:49]
	;; [unrolled: 1-line block ×3, first 2 shown]
                                        ; implicit-def: $vgpr10_vgpr11
.LBB0_60:
	s_andn2_saveexec_b64 s[18:19], s[0:1]
	s_cbranch_execz .LBB0_74
; %bb.61:
	s_mov_b32 s0, 0
	s_mov_b32 s1, 0x40418000
	v_cmp_ge_f64_e32 vcc, s[0:1], v[10:11]
                                        ; implicit-def: $vgpr50_vgpr51
                                        ; implicit-def: $vgpr54_vgpr55
                                        ; implicit-def: $vgpr6_vgpr7
                                        ; implicit-def: $vgpr2_vgpr3
	s_and_saveexec_b64 s[0:1], vcc
	s_xor_b64 s[0:1], exec, s[0:1]
	s_cbranch_execz .LBB0_67
; %bb.62:
	s_mov_b32 s20, 0
	s_mov_b32 s21, 0x40390000
	v_cmp_ge_f64_e32 vcc, s[20:21], v[10:11]
                                        ; implicit-def: $vgpr48_vgpr49
	s_and_saveexec_b64 s[20:21], vcc
	s_xor_b64 s[20:21], exec, s[20:21]
	s_cbranch_execz .LBB0_64
; %bb.63:
	s_mov_b32 s22, 0x4cdb917b
	v_mov_b32_e32 v0, 0x71d9123d
	v_mov_b32_e32 v1, 0xbf0400fb
	s_mov_b32 s23, 0x3e8f6025
	v_fmac_f64_e32 v[0:1], s[22:23], v[10:11]
	v_mov_b32_e32 v2, 0x831bb559
	v_mov_b32_e32 v3, 0x3f6cc9bd
	v_fmac_f64_e32 v[2:3], v[10:11], v[0:1]
	v_mov_b32_e32 v0, 0xcbd73d1d
	v_mov_b32_e32 v1, 0xbfc55122
	;; [unrolled: 3-line block ×3, first 2 shown]
	s_mov_b32 s22, 0xc7b11de
	v_fmac_f64_e32 v[2:3], v[10:11], v[0:1]
	v_mov_b32_e32 v0, 0x110ecaa3
	v_mov_b32_e32 v1, 0xc055d443
	s_mov_b32 s23, 0x40d03606
	v_fmac_f64_e32 v[0:1], v[10:11], v[2:3]
	v_div_scale_f64 v[2:3], s[24:25], v[10:11], v[10:11], s[22:23]
	v_rcp_f64_e32 v[4:5], v[2:3]
	v_mov_b32_e32 v6, 0x11ae71bd
	v_mov_b32_e32 v7, 0x408e8d78
	v_fmac_f64_e32 v[6:7], v[10:11], v[0:1]
	v_fma_f64 v[0:1], -v[2:3], v[4:5], 1.0
	v_fmac_f64_e32 v[4:5], v[4:5], v[0:1]
	v_fma_f64 v[0:1], -v[2:3], v[4:5], 1.0
	v_fmac_f64_e32 v[4:5], v[4:5], v[0:1]
	v_div_scale_f64 v[0:1], vcc, s[22:23], v[10:11], s[22:23]
	v_mul_f64 v[20:21], v[0:1], v[4:5]
	v_fma_f64 v[0:1], -v[2:3], v[20:21], v[0:1]
	s_nop 1
	v_div_fmas_f64 v[0:1], v[0:1], v[4:5], v[20:21]
	v_div_fixup_f64 v[0:1], v[0:1], v[10:11], s[22:23]
	s_mov_b32 s22, 0x6c1bb060
	v_fmac_f64_e32 v[0:1], v[10:11], v[6:7]
	s_mov_b32 s23, 0xc0b800ca
	v_add_f64 v[48:49], v[0:1], s[22:23]
.LBB0_64:
	s_andn2_saveexec_b64 s[20:21], s[20:21]
	s_cbranch_execz .LBB0_66
; %bb.65:
	s_mov_b32 s22, 0x3c3a8062
	v_mov_b32_e32 v0, 0x6624dbe0
	v_mov_b32_e32 v1, 0xbf13e3ca
	s_mov_b32 s23, 0x3ed815eb
	v_fmac_f64_e32 v[0:1], s[22:23], v[10:11]
	v_mov_b32_e32 v2, 0x79524e87
	v_mov_b32_e32 v3, 0x3f2ecfbc
	v_fmac_f64_e32 v[2:3], v[10:11], v[0:1]
	v_mov_b32_e32 v0, 0x289cd2a5
	v_mov_b32_e32 v1, 0xbf6f0844
	;; [unrolled: 3-line block ×5, first 2 shown]
	v_fmac_f64_e32 v[48:49], v[10:11], v[0:1]
.LBB0_66:
	s_or_b64 exec, exec, s[20:21]
	s_mov_b32 s20, 0x54442d15
	s_mov_b32 s21, 0x3fe921fb
	v_div_scale_f64 v[0:1], s[22:23], v[10:11], v[10:11], s[20:21]
	v_rcp_f64_e32 v[2:3], v[0:1]
	s_nop 0
	v_fma_f64 v[4:5], -v[0:1], v[2:3], 1.0
	v_fmac_f64_e32 v[2:3], v[2:3], v[4:5]
	v_fma_f64 v[4:5], -v[0:1], v[2:3], 1.0
	v_fmac_f64_e32 v[2:3], v[2:3], v[4:5]
	v_div_scale_f64 v[4:5], vcc, s[20:21], v[10:11], s[20:21]
	v_mul_f64 v[6:7], v[4:5], v[2:3]
	v_fma_f64 v[0:1], -v[0:1], v[6:7], v[4:5]
	s_nop 1
	v_div_fmas_f64 v[0:1], v[0:1], v[2:3], v[6:7]
	v_div_fixup_f64 v[0:1], v[0:1], v[10:11], s[20:21]
	s_mov_b32 s20, 0
	s_brev_b32 s21, 8
	v_mov_b32_e32 v2, 0x100
	v_cmp_gt_f64_e32 vcc, s[20:21], v[0:1]
	s_mov_b32 s20, 0x652b82fe
	s_mov_b32 s21, 0xbff71547
	v_cndmask_b32_e32 v2, 0, v2, vcc
	v_ldexp_f64 v[0:1], v[0:1], v2
	v_rsq_f64_e32 v[2:3], v[0:1]
	s_nop 0
	v_mul_f64 v[4:5], v[0:1], v[2:3]
	v_mul_f64 v[2:3], v[2:3], 0.5
	v_fma_f64 v[6:7], -v[2:3], v[4:5], 0.5
	v_fmac_f64_e32 v[4:5], v[4:5], v[6:7]
	v_fma_f64 v[20:21], -v[4:5], v[4:5], v[0:1]
	v_fmac_f64_e32 v[2:3], v[2:3], v[6:7]
	v_fmac_f64_e32 v[4:5], v[20:21], v[2:3]
	v_fma_f64 v[6:7], -v[4:5], v[4:5], v[0:1]
	v_fmac_f64_e32 v[4:5], v[6:7], v[2:3]
	v_mov_b32_e32 v2, 0xffffff80
	v_cndmask_b32_e32 v2, 0, v2, vcc
	v_ldexp_f64 v[2:3], v[4:5], v2
	v_mov_b32_e32 v4, 0x260
	v_cmp_class_f64_e32 vcc, v[0:1], v4
	v_mov_b32_e32 v4, 0xfca7ab0c
	v_mov_b32_e32 v5, 0x3e928af3
	v_cndmask_b32_e32 v27, v3, v1, vcc
	v_cndmask_b32_e32 v26, v2, v0, vcc
	v_mul_f64 v[0:1], v[10:11], s[20:21]
	s_mov_b32 s20, 0xfefa39ef
	v_rndne_f64_e32 v[0:1], v[0:1]
	s_mov_b32 s21, 0xbfe62e42
	v_fma_f64 v[2:3], v[0:1], s[20:21], -v[10:11]
	s_mov_b32 s20, 0x3b39803f
	s_mov_b32 s21, 0xbc7abc9e
	v_fmac_f64_e32 v[2:3], s[20:21], v[0:1]
	s_mov_b32 s20, 0x6a5dcb37
	s_mov_b32 s21, 0x3e5ade15
	v_fmac_f64_e32 v[4:5], s[20:21], v[2:3]
	v_mov_b32_e32 v6, 0x623fde64
	v_mov_b32_e32 v7, 0x3ec71dee
	v_fmac_f64_e32 v[6:7], v[2:3], v[4:5]
	v_mov_b32_e32 v4, 0x7c89e6b0
	v_mov_b32_e32 v5, 0x3efa0199
	;; [unrolled: 3-line block ×8, first 2 shown]
	v_fmac_f64_e32 v[4:5], v[2:3], v[6:7]
	v_fma_f64 v[4:5], v[2:3], v[4:5], 1.0
	v_fma_f64 v[2:3], v[2:3], v[4:5], 1.0
	v_cvt_i32_f64_e32 v0, v[0:1]
	s_mov_b32 s20, 0xb50e0d5d
	v_ldexp_f64 v[30:31], v[2:3], v0
	v_mov_b32_e32 v0, 0x470dc5ef
	v_mov_b32_e32 v1, 0x3f54d9ff
	s_mov_b32 s21, 0xbf075e3c
	v_fmac_f64_e32 v[0:1], s[20:21], v[10:11]
	v_mov_b32_e32 v2, 0x48e0f48f
	v_mov_b32_e32 v3, 0xbfce548a
	s_mov_b32 s20, 0x2d831142
	v_fmac_f64_e32 v[2:3], v[10:11], v[0:1]
	;; [unrolled: 4-line block ×3, first 2 shown]
	v_div_scale_f64 v[2:3], s[22:23], v[10:11], v[10:11], s[20:21]
	v_rcp_f64_e32 v[4:5], v[2:3]
	v_mov_b32_e32 v6, 0xad9d3c3f
	v_mov_b32_e32 v7, 0xc0805664
	v_fmac_f64_e32 v[6:7], v[10:11], v[0:1]
	v_fma_f64 v[0:1], -v[2:3], v[4:5], 1.0
	v_fmac_f64_e32 v[4:5], v[4:5], v[0:1]
	v_fma_f64 v[0:1], -v[2:3], v[4:5], 1.0
	v_fmac_f64_e32 v[4:5], v[4:5], v[0:1]
	v_div_scale_f64 v[0:1], vcc, s[20:21], v[10:11], s[20:21]
	v_mul_f64 v[20:21], v[0:1], v[4:5]
	v_fma_f64 v[0:1], -v[2:3], v[20:21], v[0:1]
	v_mul_f64 v[50:51], v[30:31], v[48:49]
	s_nop 0
	v_div_fmas_f64 v[0:1], v[0:1], v[4:5], v[20:21]
	v_div_fixup_f64 v[0:1], v[0:1], v[10:11], s[20:21]
	s_mov_b32 s20, 0xbf42f4bf
	s_mov_b32 s21, 0x412aa41e
	v_add_f64 v[0:1], v[0:1], s[20:21]
	v_div_scale_f64 v[2:3], s[20:21], v[10:11], v[10:11], v[0:1]
	v_rcp_f64_e32 v[4:5], v[2:3]
	v_mov_b32_e32 v20, 0x92c83178
	v_mov_b32_e32 v21, 0x40c4b18f
	v_fmac_f64_e32 v[20:21], v[10:11], v[6:7]
	v_fma_f64 v[6:7], -v[2:3], v[4:5], 1.0
	v_fmac_f64_e32 v[4:5], v[4:5], v[6:7]
	v_fma_f64 v[6:7], -v[2:3], v[4:5], 1.0
	v_fmac_f64_e32 v[4:5], v[4:5], v[6:7]
	v_div_scale_f64 v[6:7], vcc, v[0:1], v[10:11], v[0:1]
	v_mul_f64 v[22:23], v[6:7], v[4:5]
	v_fma_f64 v[2:3], -v[2:3], v[22:23], v[6:7]
	s_mov_b32 s21, 0xbfc2994e
	s_nop 0
	v_div_fmas_f64 v[2:3], v[2:3], v[4:5], v[22:23]
	s_mov_b32 s20, 0x486cd916
	v_div_fixup_f64 v[0:1], v[2:3], v[10:11], v[0:1]
	v_add_f64 v[2:3], v[10:11], s[20:21]
	s_mov_b32 s21, 0x3fc2994e
	v_div_scale_f64 v[4:5], s[22:23], v[2:3], v[2:3], s[20:21]
	v_rcp_f64_e32 v[6:7], v[4:5]
	s_mov_b32 s22, 0x1e414e3a
	v_fmac_f64_e32 v[0:1], v[10:11], v[20:21]
	s_mov_b32 s23, 0xc0ff8aa6
	v_add_f64 v[20:21], v[0:1], s[22:23]
	v_fma_f64 v[0:1], -v[4:5], v[6:7], 1.0
	v_fmac_f64_e32 v[6:7], v[6:7], v[0:1]
	v_fma_f64 v[0:1], -v[4:5], v[6:7], 1.0
	v_fmac_f64_e32 v[6:7], v[6:7], v[0:1]
	v_div_scale_f64 v[0:1], vcc, s[20:21], v[2:3], s[20:21]
	v_mul_f64 v[22:23], v[0:1], v[6:7]
	v_fma_f64 v[0:1], -v[4:5], v[22:23], v[0:1]
	s_nop 1
	v_div_fmas_f64 v[0:1], v[0:1], v[6:7], v[22:23]
	v_div_fixup_f64 v[0:1], v[0:1], v[2:3], s[20:21]
	s_mov_b32 s20, 0x3c19a9e1
	v_mov_b32_e32 v2, 0xb4241f23
	v_mov_b32_e32 v3, 0x40196d17
	s_mov_b32 s21, 0xbfb41c9f
	v_fmac_f64_e32 v[2:3], s[20:21], v[10:11]
	s_mov_b32 s20, 0x72a31b48
	s_mov_b32 s21, 0xc1ce8698
	v_div_scale_f64 v[4:5], s[22:23], v[10:11], v[10:11], s[20:21]
	v_rcp_f64_e32 v[6:7], v[4:5]
	v_fmac_f64_e32 v[0:1], v[20:21], v[30:31]
	v_mov_b32_e32 v20, 0x42dc8407
	v_mov_b32_e32 v21, 0xc07524c0
	v_fmac_f64_e32 v[20:21], v[10:11], v[2:3]
	v_fma_f64 v[2:3], -v[4:5], v[6:7], 1.0
	v_fmac_f64_e32 v[6:7], v[6:7], v[2:3]
	v_fma_f64 v[2:3], -v[4:5], v[6:7], 1.0
	v_fmac_f64_e32 v[6:7], v[6:7], v[2:3]
	v_div_scale_f64 v[2:3], vcc, s[20:21], v[10:11], s[20:21]
	v_mul_f64 v[22:23], v[2:3], v[6:7]
	v_fma_f64 v[2:3], -v[4:5], v[22:23], v[2:3]
	s_nop 1
	v_div_fmas_f64 v[2:3], v[2:3], v[6:7], v[22:23]
	v_div_fixup_f64 v[2:3], v[2:3], v[10:11], s[20:21]
	s_mov_b32 s20, 0x894b0319
	s_mov_b32 s21, 0x41b60f59
	v_add_f64 v[2:3], v[2:3], s[20:21]
	v_div_scale_f64 v[4:5], s[20:21], v[10:11], v[10:11], v[2:3]
	v_rcp_f64_e32 v[6:7], v[4:5]
	v_mov_b32_e32 v22, 0x58a4f161
	v_mov_b32_e32 v23, 0x40c87006
	v_fmac_f64_e32 v[22:23], v[10:11], v[20:21]
	v_fma_f64 v[20:21], -v[4:5], v[6:7], 1.0
	v_fmac_f64_e32 v[6:7], v[6:7], v[20:21]
	v_fma_f64 v[20:21], -v[4:5], v[6:7], 1.0
	v_fmac_f64_e32 v[6:7], v[6:7], v[20:21]
	v_div_scale_f64 v[20:21], vcc, v[2:3], v[10:11], v[2:3]
	v_mul_f64 v[28:29], v[20:21], v[6:7]
	v_fma_f64 v[4:5], -v[4:5], v[28:29], v[20:21]
	s_mov_b32 s20, 0xe41336fa
	s_nop 0
	v_div_fmas_f64 v[4:5], v[4:5], v[6:7], v[28:29]
	v_div_fixup_f64 v[2:3], v[4:5], v[10:11], v[2:3]
	s_mov_b32 s21, 0xc18bfefa
	v_add_f64 v[2:3], v[2:3], s[20:21]
	v_div_scale_f64 v[4:5], s[20:21], v[10:11], v[10:11], v[2:3]
	v_rcp_f64_e32 v[6:7], v[4:5]
	v_mov_b32_e32 v20, 0x483433dc
	v_mov_b32_e32 v21, 0xc11356be
	v_fmac_f64_e32 v[20:21], v[10:11], v[22:23]
	v_fma_f64 v[22:23], -v[4:5], v[6:7], 1.0
	v_fmac_f64_e32 v[6:7], v[6:7], v[22:23]
	v_fma_f64 v[22:23], -v[4:5], v[6:7], 1.0
	v_fmac_f64_e32 v[6:7], v[6:7], v[22:23]
	v_div_scale_f64 v[22:23], vcc, v[2:3], v[10:11], v[2:3]
	v_mul_f64 v[28:29], v[22:23], v[6:7]
	v_fma_f64 v[4:5], -v[4:5], v[28:29], v[22:23]
	s_mov_b32 s21, 0xbff56cf1
	s_nop 0
	v_div_fmas_f64 v[4:5], v[4:5], v[6:7], v[28:29]
	s_mov_b32 s20, 0x472aa3dd
	v_div_fixup_f64 v[2:3], v[4:5], v[10:11], v[2:3]
	v_add_f64 v[4:5], v[10:11], s[20:21]
	s_mov_b32 s21, 0x3ff56cf1
	v_div_scale_f64 v[6:7], s[22:23], v[4:5], v[4:5], s[20:21]
	v_fmac_f64_e32 v[2:3], v[10:11], v[20:21]
	v_rcp_f64_e32 v[20:21], v[6:7]
	s_mov_b32 s22, 0x874a6681
	s_mov_b32 s23, 0x41548be7
	v_add_f64 v[22:23], v[2:3], s[22:23]
	v_fma_f64 v[2:3], -v[6:7], v[20:21], 1.0
	v_fmac_f64_e32 v[20:21], v[20:21], v[2:3]
	v_fma_f64 v[2:3], -v[6:7], v[20:21], 1.0
	v_fmac_f64_e32 v[20:21], v[20:21], v[2:3]
	v_div_scale_f64 v[2:3], vcc, s[20:21], v[4:5], s[20:21]
	v_mul_f64 v[28:29], v[2:3], v[20:21]
	v_fma_f64 v[2:3], -v[6:7], v[28:29], v[2:3]
	s_nop 1
	v_div_fmas_f64 v[2:3], v[2:3], v[20:21], v[28:29]
	v_div_fixup_f64 v[2:3], v[2:3], v[4:5], s[20:21]
	s_mov_b32 s20, 0xe97f996d
	v_mov_b32_e32 v4, 0x25cefe33
	v_mov_b32_e32 v5, 0x40326987
	s_mov_b32 s21, 0xbfce7385
	v_fmac_f64_e32 v[4:5], s[20:21], v[10:11]
	s_mov_b32 s20, 0xc850a29c
	s_mov_b32 s21, 0xc1e577d0
	v_div_scale_f64 v[6:7], s[22:23], v[10:11], v[10:11], s[20:21]
	v_rcp_f64_e32 v[20:21], v[6:7]
	v_fmac_f64_e32 v[2:3], v[22:23], v[30:31]
	v_mov_b32_e32 v22, 0xfa23cf3d
	v_mov_b32_e32 v23, 0xc08f500e
	v_fmac_f64_e32 v[22:23], v[10:11], v[4:5]
	v_fma_f64 v[4:5], -v[6:7], v[20:21], 1.0
	v_fmac_f64_e32 v[20:21], v[20:21], v[4:5]
	v_fma_f64 v[4:5], -v[6:7], v[20:21], 1.0
	v_fmac_f64_e32 v[20:21], v[20:21], v[4:5]
	v_div_scale_f64 v[4:5], vcc, s[20:21], v[10:11], s[20:21]
	v_mul_f64 v[28:29], v[4:5], v[20:21]
	v_fma_f64 v[4:5], -v[6:7], v[28:29], v[4:5]
	s_nop 1
	v_div_fmas_f64 v[4:5], v[4:5], v[20:21], v[28:29]
	v_div_fixup_f64 v[4:5], v[4:5], v[10:11], s[20:21]
	s_mov_b32 s20, 0x6738fe48
	s_mov_b32 s21, 0x41cfc6e9
	v_add_f64 v[4:5], v[4:5], s[20:21]
	v_div_scale_f64 v[6:7], s[20:21], v[10:11], v[10:11], v[4:5]
	v_rcp_f64_e32 v[20:21], v[6:7]
	v_mov_b32_e32 v28, 0xe4a29e3b
	v_mov_b32_e32 v29, 0x40e25165
	v_fmac_f64_e32 v[28:29], v[10:11], v[22:23]
	v_fma_f64 v[22:23], -v[6:7], v[20:21], 1.0
	v_fmac_f64_e32 v[20:21], v[20:21], v[22:23]
	v_fma_f64 v[22:23], -v[6:7], v[20:21], 1.0
	v_fmac_f64_e32 v[20:21], v[20:21], v[22:23]
	v_div_scale_f64 v[22:23], vcc, v[4:5], v[10:11], v[4:5]
	v_mul_f64 v[32:33], v[22:23], v[20:21]
	v_fma_f64 v[6:7], -v[6:7], v[32:33], v[22:23]
	s_mov_b32 s20, 0x135ff25e
	s_nop 0
	v_div_fmas_f64 v[6:7], v[6:7], v[20:21], v[32:33]
	v_div_fixup_f64 v[4:5], v[6:7], v[10:11], v[4:5]
	s_mov_b32 s21, 0xc1a48f39
	v_add_f64 v[4:5], v[4:5], s[20:21]
	v_div_scale_f64 v[6:7], s[20:21], v[10:11], v[10:11], v[4:5]
	v_rcp_f64_e32 v[20:21], v[6:7]
	v_mov_b32_e32 v22, 0x53a7df02
	v_mov_b32_e32 v23, 0xc12d02c5
	v_fmac_f64_e32 v[22:23], v[10:11], v[28:29]
	v_fma_f64 v[28:29], -v[6:7], v[20:21], 1.0
	v_fmac_f64_e32 v[20:21], v[20:21], v[28:29]
	v_fma_f64 v[28:29], -v[6:7], v[20:21], 1.0
	v_fmac_f64_e32 v[20:21], v[20:21], v[28:29]
	v_div_scale_f64 v[28:29], vcc, v[4:5], v[10:11], v[4:5]
	v_mul_f64 v[32:33], v[28:29], v[20:21]
	v_fma_f64 v[6:7], -v[6:7], v[32:33], v[28:29]
	s_mov_b32 s21, 0xc00f6a6b
	s_nop 0
	v_div_fmas_f64 v[6:7], v[6:7], v[20:21], v[32:33]
	s_mov_b32 s20, 0xd7175b27
	v_div_fixup_f64 v[4:5], v[6:7], v[10:11], v[4:5]
	v_add_f64 v[6:7], v[10:11], s[20:21]
	s_mov_b32 s21, 0x400f6a6b
	v_div_scale_f64 v[20:21], s[22:23], v[6:7], v[6:7], s[20:21]
	v_fmac_f64_e32 v[4:5], v[10:11], v[22:23]
	v_rcp_f64_e32 v[22:23], v[20:21]
	s_mov_b32 s22, 0x60bc7608
	s_mov_b32 s23, 0x416e98fa
	v_add_f64 v[28:29], v[4:5], s[22:23]
	v_fma_f64 v[4:5], -v[20:21], v[22:23], 1.0
	v_fmac_f64_e32 v[22:23], v[22:23], v[4:5]
	v_fma_f64 v[4:5], -v[20:21], v[22:23], 1.0
	v_fmac_f64_e32 v[22:23], v[22:23], v[4:5]
	v_div_scale_f64 v[4:5], vcc, s[20:21], v[6:7], s[20:21]
	v_mul_f64 v[32:33], v[4:5], v[22:23]
	v_fma_f64 v[4:5], -v[20:21], v[32:33], v[4:5]
	v_mov_b32_e32 v20, 0x4c53000c
	s_nop 0
	v_div_fmas_f64 v[4:5], v[4:5], v[22:23], v[32:33]
	v_div_fixup_f64 v[4:5], v[4:5], v[6:7], s[20:21]
	s_mov_b32 s20, 0x5bfb2721
	v_mov_b32_e32 v6, 0x3d287e7
	v_mov_b32_e32 v7, 0xbfd753a2
	s_mov_b32 s21, 0xbf43aef7
	v_fmac_f64_e32 v[6:7], s[20:21], v[10:11]
	v_mov_b32_e32 v21, 0x402f7fcd
	s_mov_b32 s20, 0x8ea4cf22
	v_fmac_f64_e32 v[20:21], v[10:11], v[6:7]
	v_mov_b32_e32 v6, 0xd247dd83
	v_mov_b32_e32 v7, 0xc084778d
	s_mov_b32 s21, 0x4180a4fb
	v_fmac_f64_e32 v[6:7], v[10:11], v[20:21]
	v_div_scale_f64 v[20:21], s[22:23], v[10:11], v[10:11], s[20:21]
	v_rcp_f64_e32 v[22:23], v[20:21]
	v_fmac_f64_e32 v[4:5], v[28:29], v[30:31]
	v_mov_b32_e32 v28, 0x40e039ea
	v_mov_b32_e32 v29, 0x40d0aec0
	v_fmac_f64_e32 v[28:29], v[10:11], v[6:7]
	v_fma_f64 v[6:7], -v[20:21], v[22:23], 1.0
	v_fmac_f64_e32 v[22:23], v[22:23], v[6:7]
	v_fma_f64 v[6:7], -v[20:21], v[22:23], 1.0
	v_fmac_f64_e32 v[22:23], v[22:23], v[6:7]
	v_div_scale_f64 v[6:7], vcc, s[20:21], v[10:11], s[20:21]
	v_mul_f64 v[32:33], v[6:7], v[22:23]
	v_fma_f64 v[6:7], -v[20:21], v[32:33], v[6:7]
	s_nop 1
	v_div_fmas_f64 v[6:7], v[6:7], v[22:23], v[32:33]
	v_div_fixup_f64 v[6:7], v[6:7], v[10:11], s[20:21]
	s_mov_b32 s20, 0x88468124
	s_mov_b32 s21, 0xc16f75ee
	v_add_f64 v[6:7], v[6:7], s[20:21]
	v_div_scale_f64 v[20:21], s[20:21], v[10:11], v[10:11], v[6:7]
	v_rcp_f64_e32 v[22:23], v[20:21]
	v_mov_b32_e32 v32, 0xc255be1a
	v_mov_b32_e32 v33, 0xc111bb57
	v_fmac_f64_e32 v[32:33], v[10:11], v[28:29]
	v_fma_f64 v[28:29], -v[20:21], v[22:23], 1.0
	v_fmac_f64_e32 v[22:23], v[22:23], v[28:29]
	v_fma_f64 v[28:29], -v[20:21], v[22:23], 1.0
	v_fmac_f64_e32 v[22:23], v[22:23], v[28:29]
	v_div_scale_f64 v[28:29], vcc, v[6:7], v[10:11], v[6:7]
	v_mul_f64 v[34:35], v[28:29], v[22:23]
	v_fma_f64 v[20:21], -v[20:21], v[34:35], v[28:29]
	s_mov_b32 s21, 0xc0212d61
	s_nop 0
	v_div_fmas_f64 v[20:21], v[20:21], v[22:23], v[34:35]
	s_mov_b32 s20, 0xa833213e
	v_div_fixup_f64 v[6:7], v[20:21], v[10:11], v[6:7]
	v_add_f64 v[20:21], v[10:11], s[20:21]
	s_mov_b32 s21, 0x40212d61
	v_div_scale_f64 v[22:23], s[22:23], v[20:21], v[20:21], s[20:21]
	v_rcp_f64_e32 v[28:29], v[22:23]
	s_mov_b32 s22, 0xb3692b7d
	v_fmac_f64_e32 v[6:7], v[10:11], v[32:33]
	s_mov_b32 s23, 0x4146a539
	v_add_f64 v[32:33], v[6:7], s[22:23]
	v_fma_f64 v[6:7], -v[22:23], v[28:29], 1.0
	v_fmac_f64_e32 v[28:29], v[28:29], v[6:7]
	v_fma_f64 v[6:7], -v[22:23], v[28:29], 1.0
	v_fmac_f64_e32 v[28:29], v[28:29], v[6:7]
	v_div_scale_f64 v[6:7], vcc, s[20:21], v[20:21], s[20:21]
	v_mul_f64 v[34:35], v[6:7], v[28:29]
	v_fma_f64 v[6:7], -v[22:23], v[34:35], v[6:7]
	v_mov_b32_e32 v22, 0xca6d13a7
	s_nop 0
	v_div_fmas_f64 v[6:7], v[6:7], v[28:29], v[34:35]
	v_div_fixup_f64 v[6:7], v[6:7], v[20:21], s[20:21]
	s_mov_b32 s20, 0x999f3b2
	s_mov_b32 s21, 0x3f2d856f
	v_fmac_f64_e32 v[50:51], s[20:21], v[26:27]
	s_mov_b32 s20, 0x29fd24f1
	v_mov_b32_e32 v20, 0x73858adf
	v_mov_b32_e32 v21, 0xbf82c698
	s_mov_b32 s21, 0x3f2efc07
	v_fmac_f64_e32 v[20:21], s[20:21], v[10:11]
	s_mov_b32 s20, 0xca91e703
	v_mov_b32_e32 v23, 0x3fdd9476
	s_mov_b32 s21, 0x4188dd4b
	v_fmac_f64_e32 v[22:23], v[10:11], v[20:21]
	v_div_scale_f64 v[20:21], s[22:23], v[10:11], v[10:11], s[20:21]
	v_rcp_f64_e32 v[28:29], v[20:21]
	v_fmac_f64_e32 v[6:7], v[32:33], v[30:31]
	v_mov_b32_e32 v32, 0xcbc4d9e7
	v_mov_b32_e32 v33, 0xc033b1c2
	v_fmac_f64_e32 v[32:33], v[10:11], v[22:23]
	v_fma_f64 v[22:23], -v[20:21], v[28:29], 1.0
	v_fmac_f64_e32 v[28:29], v[28:29], v[22:23]
	v_fma_f64 v[22:23], -v[20:21], v[28:29], 1.0
	v_fmac_f64_e32 v[28:29], v[28:29], v[22:23]
	v_div_scale_f64 v[22:23], vcc, s[20:21], v[10:11], s[20:21]
	v_mul_f64 v[34:35], v[22:23], v[28:29]
	v_fma_f64 v[20:21], -v[20:21], v[34:35], v[22:23]
	s_nop 1
	v_div_fmas_f64 v[20:21], v[20:21], v[28:29], v[34:35]
	v_div_fixup_f64 v[20:21], v[20:21], v[10:11], s[20:21]
	s_mov_b32 s20, 0x4e0bb8d1
	s_mov_b32 s21, 0xc1699482
	v_add_f64 v[20:21], v[20:21], s[20:21]
	v_div_scale_f64 v[22:23], s[20:21], v[10:11], v[10:11], v[20:21]
	v_rcp_f64_e32 v[28:29], v[22:23]
	v_mov_b32_e32 v34, 0x6205102
	v_mov_b32_e32 v35, 0x407f32b5
	v_fmac_f64_e32 v[34:35], v[10:11], v[32:33]
	v_fma_f64 v[32:33], -v[22:23], v[28:29], 1.0
	v_fmac_f64_e32 v[28:29], v[28:29], v[32:33]
	v_fma_f64 v[32:33], -v[22:23], v[28:29], 1.0
	v_fmac_f64_e32 v[28:29], v[28:29], v[32:33]
	v_div_scale_f64 v[32:33], vcc, v[20:21], v[10:11], v[20:21]
	v_mul_f64 v[48:49], v[32:33], v[28:29]
	v_fma_f64 v[22:23], -v[22:23], v[48:49], v[32:33]
	s_mov_b32 s20, 0xfba9940e
	s_nop 0
	v_div_fmas_f64 v[22:23], v[22:23], v[28:29], v[48:49]
	v_div_fixup_f64 v[20:21], v[22:23], v[10:11], v[20:21]
	s_mov_b32 s21, 0x4131585c
	v_add_f64 v[20:21], v[20:21], s[20:21]
	v_div_scale_f64 v[22:23], s[20:21], v[10:11], v[10:11], v[20:21]
	v_rcp_f64_e32 v[28:29], v[22:23]
	v_mov_b32_e32 v32, 0xce2c4c3b
	v_mov_b32_e32 v33, 0xc0b84632
	v_fmac_f64_e32 v[32:33], v[10:11], v[34:35]
	v_fma_f64 v[34:35], -v[22:23], v[28:29], 1.0
	v_fmac_f64_e32 v[28:29], v[28:29], v[34:35]
	v_fma_f64 v[34:35], -v[22:23], v[28:29], 1.0
	v_fmac_f64_e32 v[28:29], v[28:29], v[34:35]
	v_div_scale_f64 v[34:35], vcc, v[20:21], v[10:11], v[20:21]
	v_mul_f64 v[48:49], v[34:35], v[28:29]
	v_fma_f64 v[22:23], -v[22:23], v[48:49], v[34:35]
	s_mov_b32 s20, 0xd53b761
	s_nop 0
	v_div_fmas_f64 v[22:23], v[22:23], v[28:29], v[48:49]
	v_div_fixup_f64 v[20:21], v[22:23], v[10:11], v[20:21]
	v_fmac_f64_e32 v[20:21], v[10:11], v[32:33]
	s_mov_b32 s21, 0xc0a5fe06
	v_add_f64 v[20:21], v[20:21], s[20:21]
	s_mov_b32 s20, 0x5a77e739
	v_mul_f64 v[48:49], v[20:21], v[30:31]
	s_mov_b32 s21, 0x3f93bba1
	v_fmac_f64_e32 v[48:49], s[20:21], v[26:27]
	s_mov_b32 s20, 0x6fb3601f
	v_mov_b32_e32 v20, 0xdb9a5984
	v_mov_b32_e32 v21, 0xbfa21ea1
	s_mov_b32 s21, 0x3f47ea5b
	v_fmac_f64_e32 v[20:21], s[20:21], v[10:11]
	v_mov_b32_e32 v22, 0xf7a451f9
	v_mov_b32_e32 v23, 0x40009fb0
	s_mov_b32 s20, 0x940c38be
	v_fmac_f64_e32 v[22:23], v[10:11], v[20:21]
	;; [unrolled: 4-line block ×3, first 2 shown]
	v_div_scale_f64 v[22:23], s[22:23], v[10:11], v[10:11], s[20:21]
	v_rcp_f64_e32 v[28:29], v[22:23]
	v_mov_b32_e32 v32, 0x470740f5
	v_mov_b32_e32 v33, 0x40a8a01f
	v_fmac_f64_e32 v[32:33], v[10:11], v[20:21]
	v_fma_f64 v[20:21], -v[22:23], v[28:29], 1.0
	v_fmac_f64_e32 v[28:29], v[28:29], v[20:21]
	v_fma_f64 v[20:21], -v[22:23], v[28:29], 1.0
	v_fmac_f64_e32 v[28:29], v[28:29], v[20:21]
	v_div_scale_f64 v[20:21], vcc, s[20:21], v[10:11], s[20:21]
	v_mul_f64 v[34:35], v[20:21], v[28:29]
	v_fma_f64 v[20:21], -v[22:23], v[34:35], v[20:21]
	s_mov_b32 s22, 0xb4d0174d
	s_nop 0
	v_div_fmas_f64 v[20:21], v[20:21], v[28:29], v[34:35]
	v_div_fixup_f64 v[20:21], v[20:21], v[10:11], s[20:21]
	s_mov_b32 s20, 0xfa71469f
	s_mov_b32 s21, 0xc1541171
	v_add_f64 v[20:21], v[20:21], s[20:21]
	v_div_scale_f64 v[22:23], s[20:21], v[10:11], v[10:11], v[20:21]
	v_rcp_f64_e32 v[28:29], v[22:23]
	v_mov_b32_e32 v34, 0x169a0b7e
	v_mov_b32_e32 v35, 0xc0ee9e2f
	v_fmac_f64_e32 v[34:35], v[10:11], v[32:33]
	v_fma_f64 v[32:33], -v[22:23], v[28:29], 1.0
	v_fmac_f64_e32 v[28:29], v[28:29], v[32:33]
	v_fma_f64 v[32:33], -v[22:23], v[28:29], 1.0
	v_fmac_f64_e32 v[28:29], v[28:29], v[32:33]
	v_div_scale_f64 v[32:33], vcc, v[20:21], v[10:11], v[20:21]
	v_mul_f64 v[52:53], v[32:33], v[28:29]
	v_fma_f64 v[22:23], -v[22:23], v[52:53], v[32:33]
	s_mov_b32 s23, 0x3fc91e26
	s_nop 0
	v_div_fmas_f64 v[22:23], v[22:23], v[28:29], v[52:53]
	v_div_fixup_f64 v[20:21], v[22:23], v[10:11], v[20:21]
	v_div_scale_f64 v[22:23], s[24:25], v[10:11], v[10:11], s[22:23]
	v_rcp_f64_e32 v[28:29], v[22:23]
	s_mov_b32 s20, 0xcd4be3bf
	v_fmac_f64_e32 v[20:21], v[10:11], v[34:35]
	s_mov_b32 s21, 0x4127693e
	v_add_f64 v[20:21], v[20:21], s[20:21]
	v_mul_f64 v[54:55], v[20:21], v[30:31]
	v_fma_f64 v[20:21], -v[22:23], v[28:29], 1.0
	v_fmac_f64_e32 v[28:29], v[28:29], v[20:21]
	v_fma_f64 v[20:21], -v[22:23], v[28:29], 1.0
	v_fmac_f64_e32 v[28:29], v[28:29], v[20:21]
	v_div_scale_f64 v[20:21], vcc, s[22:23], v[10:11], s[22:23]
	v_mul_f64 v[32:33], v[20:21], v[28:29]
	v_fma_f64 v[20:21], -v[22:23], v[32:33], v[20:21]
	s_mov_b32 s20, 0x80245b5f
	s_nop 0
	v_div_fmas_f64 v[20:21], v[20:21], v[28:29], v[32:33]
	v_div_fixup_f64 v[20:21], v[20:21], v[10:11], s[22:23]
	s_mov_b32 s21, 0xbfdfce11
	v_add_f64 v[20:21], v[20:21], s[20:21]
	v_div_scale_f64 v[22:23], s[20:21], v[10:11], v[10:11], v[20:21]
	v_rcp_f64_e32 v[28:29], v[22:23]
	s_mov_b32 s20, 0x41317cef
	s_mov_b32 s21, 0x3fce036f
	v_fmac_f64_e32 v[54:55], s[20:21], v[26:27]
	v_fma_f64 v[32:33], -v[22:23], v[28:29], 1.0
	v_fmac_f64_e32 v[28:29], v[28:29], v[32:33]
	v_fma_f64 v[32:33], -v[22:23], v[28:29], 1.0
	v_fmac_f64_e32 v[28:29], v[28:29], v[32:33]
	v_div_scale_f64 v[32:33], vcc, v[20:21], v[10:11], v[20:21]
	v_mul_f64 v[34:35], v[32:33], v[28:29]
	v_fma_f64 v[22:23], -v[22:23], v[34:35], v[32:33]
	s_mov_b32 s20, 0x6403a8cf
	s_nop 0
	v_div_fmas_f64 v[22:23], v[22:23], v[28:29], v[34:35]
	v_div_fixup_f64 v[10:11], v[22:23], v[10:11], v[20:21]
	s_mov_b32 s21, 0xbf0f8a14
	v_add_f64 v[10:11], v[10:11], s[20:21]
	v_fmac_f64_e32 v[26:27], v[10:11], v[30:31]
	v_add_f64 v[10:11], v[26:27], -v[54:55]
	v_add_f64 v[10:11], v[10:11], -v[48:49]
	;; [unrolled: 1-line block ×3, first 2 shown]
                                        ; implicit-def: $vgpr10_vgpr11
.LBB0_67:
	s_andn2_saveexec_b64 s[20:21], s[0:1]
	s_cbranch_execz .LBB0_73
; %bb.68:
	s_mov_b32 s0, 0x54442d15
	s_mov_b32 s1, 0x3fe921fb
	v_div_scale_f64 v[0:1], s[22:23], v[10:11], v[10:11], s[0:1]
	v_rcp_f64_e32 v[2:3], v[0:1]
                                        ; implicit-def: $vgpr50_vgpr51
                                        ; implicit-def: $vgpr54_vgpr55
	s_nop 0
	v_fma_f64 v[4:5], -v[0:1], v[2:3], 1.0
	v_fmac_f64_e32 v[2:3], v[2:3], v[4:5]
	v_fma_f64 v[4:5], -v[0:1], v[2:3], 1.0
	v_fmac_f64_e32 v[2:3], v[2:3], v[4:5]
	v_div_scale_f64 v[4:5], vcc, s[0:1], v[10:11], s[0:1]
	v_mul_f64 v[6:7], v[4:5], v[2:3]
	v_fma_f64 v[0:1], -v[0:1], v[6:7], v[4:5]
	s_nop 1
	v_div_fmas_f64 v[0:1], v[0:1], v[2:3], v[6:7]
	v_div_fixup_f64 v[0:1], v[0:1], v[10:11], s[0:1]
	s_mov_b32 s0, 0
	s_brev_b32 s1, 8
	v_mov_b32_e32 v2, 0x100
	v_cmp_gt_f64_e32 vcc, s[0:1], v[0:1]
	s_mov_b32 s0, 0
	s_mov_b32 s1, 0x404a8000
	v_cndmask_b32_e32 v2, 0, v2, vcc
	v_ldexp_f64 v[0:1], v[0:1], v2
	v_rsq_f64_e32 v[2:3], v[0:1]
	v_cmp_ge_f64_e64 s[0:1], s[0:1], v[10:11]
	v_mul_f64 v[4:5], v[0:1], v[2:3]
	v_mul_f64 v[2:3], v[2:3], 0.5
	v_fma_f64 v[6:7], -v[2:3], v[4:5], 0.5
	v_fmac_f64_e32 v[4:5], v[4:5], v[6:7]
	v_fma_f64 v[20:21], -v[4:5], v[4:5], v[0:1]
	v_fmac_f64_e32 v[2:3], v[2:3], v[6:7]
	v_fmac_f64_e32 v[4:5], v[20:21], v[2:3]
	v_fma_f64 v[6:7], -v[4:5], v[4:5], v[0:1]
	v_fmac_f64_e32 v[4:5], v[6:7], v[2:3]
	v_mov_b32_e32 v2, 0xffffff80
	v_cndmask_b32_e32 v2, 0, v2, vcc
	v_ldexp_f64 v[2:3], v[4:5], v2
	v_mov_b32_e32 v4, 0x260
	v_cmp_class_f64_e32 vcc, v[0:1], v4
                                        ; implicit-def: $vgpr6_vgpr7
	s_nop 1
	v_cndmask_b32_e32 v27, v3, v1, vcc
	v_cndmask_b32_e32 v26, v2, v0, vcc
                                        ; implicit-def: $vgpr2_vgpr3
	s_and_saveexec_b64 s[22:23], s[0:1]
	s_xor_b64 s[22:23], exec, s[22:23]
	s_cbranch_execz .LBB0_70
; %bb.69:
	s_mov_b32 s1, 0xbff71547
	s_mov_b32 s0, 0x652b82fe
	v_mul_f64 v[0:1], v[10:11], s[0:1]
	s_mov_b32 s24, 0xfefa39ef
	v_rndne_f64_e32 v[2:3], v[0:1]
	s_mov_b32 s25, 0xbfe62e42
	s_mov_b32 s26, 0x3b39803f
	;; [unrolled: 1-line block ×3, first 2 shown]
	v_fma_f64 v[4:5], v[2:3], s[24:25], -v[10:11]
	s_mov_b32 s27, 0xbc7abc9e
	s_mov_b32 s41, 0x3e928af3
	;; [unrolled: 1-line block ×3, first 2 shown]
	v_fmac_f64_e32 v[4:5], s[26:27], v[2:3]
	s_mov_b32 s29, 0x3e5ade15
	v_mov_b64_e32 v[0:1], s[40:41]
	s_mov_b32 s40, 0x623fde64
	v_fma_f64 v[6:7], s[28:29], v[4:5], v[0:1]
	s_mov_b32 s41, 0x3ec71dee
	s_mov_b32 s42, 0x7c89e6b0
	v_fma_f64 v[6:7], v[4:5], v[6:7], s[40:41]
	s_mov_b32 s43, 0x3efa0199
	;; [unrolled: 3-line block ×8, first 2 shown]
	v_fma_f64 v[6:7], v[4:5], v[6:7], s[62:63]
	v_fma_f64 v[6:7], v[4:5], v[6:7], 1.0
	v_fma_f64 v[4:5], v[4:5], v[6:7], 1.0
	v_cvt_i32_f64_e32 v2, v[2:3]
	v_ldexp_f64 v[2:3], v[4:5], v2
	v_mov_b32_e32 v4, 0x40100000
	v_mov_b32_e32 v5, 0x3ff00000
	v_cmp_eq_f64_e32 vcc, 1.0, v[10:11]
	v_frexp_mant_f64_e32 v[6:7], v[10:11]
	s_mov_b32 s73, 0x3fe55555
	s_mov_b32 s72, 0x55555555
	v_cndmask_b32_e32 v5, v4, v5, vcc
	v_cmp_gt_f64_e32 vcc, s[72:73], v[6:7]
	v_frexp_exp_i32_f64_e32 v20, v[10:11]
	s_mov_b32 s74, 0x4222de17
	v_cndmask_b32_e64 v21, 0, 1, vcc
	v_ldexp_f64 v[6:7], v[6:7], v21
	v_subbrev_co_u32_e32 v52, vcc, 0, v20, vcc
	v_add_f64 v[20:21], v[6:7], 1.0
	v_rcp_f64_e32 v[22:23], v[20:21]
	v_add_f64 v[30:31], v[20:21], -1.0
	v_add_f64 v[28:29], v[6:7], -1.0
	v_add_f64 v[6:7], v[6:7], -v[30:31]
	v_fma_f64 v[30:31], -v[20:21], v[22:23], 1.0
	v_fmac_f64_e32 v[22:23], v[30:31], v[22:23]
	v_fma_f64 v[30:31], -v[20:21], v[22:23], 1.0
	v_fmac_f64_e32 v[22:23], v[30:31], v[22:23]
	v_mul_f64 v[30:31], v[28:29], v[22:23]
	v_mul_f64 v[32:33], v[20:21], v[30:31]
	v_fma_f64 v[20:21], v[30:31], v[20:21], -v[32:33]
	v_fmac_f64_e32 v[20:21], v[30:31], v[6:7]
	v_add_f64 v[6:7], v[32:33], v[20:21]
	v_add_f64 v[34:35], v[28:29], -v[6:7]
	v_add_f64 v[32:33], v[6:7], -v[32:33]
	;; [unrolled: 1-line block ×5, first 2 shown]
	v_add_f64 v[6:7], v[20:21], v[6:7]
	v_add_f64 v[6:7], v[34:35], v[6:7]
	v_mul_f64 v[20:21], v[22:23], v[6:7]
	v_add_f64 v[6:7], v[30:31], v[20:21]
	v_add_f64 v[22:23], v[6:7], -v[30:31]
	v_add_f64 v[50:51], v[20:21], -v[22:23]
	v_mul_f64 v[20:21], v[6:7], v[6:7]
	v_fma_f64 v[22:23], v[6:7], v[6:7], -v[20:21]
	v_add_f64 v[28:29], v[50:51], v[50:51]
	v_fmac_f64_e32 v[22:23], v[6:7], v[28:29]
	v_add_f64 v[30:31], v[20:21], v[22:23]
	v_add_f64 v[20:21], v[30:31], -v[20:21]
	v_add_f64 v[48:49], v[22:23], -v[20:21]
	v_mov_b32_e32 v20, 0x968915a9
	v_mov_b32_e32 v21, 0x3fba6564
	s_mov_b32 s75, 0x3fbdee67
	v_fmac_f64_e32 v[20:21], s[74:75], v[30:31]
	v_mov_b32_e32 v22, 0x3abe935a
	v_mov_b32_e32 v23, 0x3fbe25e4
	v_fmac_f64_e32 v[22:23], v[30:31], v[20:21]
	v_mov_b32_e32 v20, 0x47e6c9c2
	v_mov_b32_e32 v21, 0x3fc110ef
	;; [unrolled: 3-line block ×7, first 2 shown]
	v_fmac_f64_e32 v[22:23], v[30:31], v[20:21]
	v_cvt_f64_i32_e32 v[20:21], v52
	s_mov_b32 s75, 0x3fe62e42
	s_mov_b32 s74, s24
	v_mul_f64 v[28:29], v[20:21], s[74:75]
	v_fma_f64 v[32:33], v[20:21], s[74:75], -v[28:29]
	s_mov_b32 s75, 0x3c7abc9e
	s_mov_b32 s74, s26
	v_fmac_f64_e32 v[32:33], s[74:75], v[20:21]
	v_add_f64 v[20:21], v[28:29], v[32:33]
	v_mul_f64 v[34:35], v[6:7], v[30:31]
	v_add_f64 v[28:29], v[20:21], -v[28:29]
	v_fma_f64 v[54:55], v[30:31], v[6:7], -v[34:35]
	v_add_f64 v[52:53], v[32:33], -v[28:29]
	v_ldexp_f64 v[32:33], v[50:51], 1
	v_fmac_f64_e32 v[54:55], v[30:31], v[50:51]
	v_mul_f64 v[50:51], v[30:31], v[22:23]
	v_fma_f64 v[30:31], v[30:31], v[22:23], -v[50:51]
	v_fmac_f64_e32 v[30:31], v[48:49], v[22:23]
	v_add_f64 v[22:23], v[50:51], v[30:31]
	v_fmac_f64_e32 v[54:55], v[48:49], v[6:7]
	v_add_f64 v[48:49], v[22:23], -v[50:51]
	v_add_f64 v[30:31], v[30:31], -v[48:49]
	v_add_f64 v[48:49], v[22:23], s[72:73]
	s_mov_b32 s73, 0xbfe55555
	v_add_f64 v[50:51], v[48:49], s[72:73]
	s_mov_b32 s72, 0xd5df274d
	s_mov_b32 s73, 0x3c8543b0
	v_add_f64 v[22:23], v[22:23], -v[50:51]
	v_add_f64 v[30:31], v[30:31], s[72:73]
	v_add_f64 v[22:23], v[30:31], v[22:23]
	v_add_f64 v[30:31], v[48:49], v[22:23]
	v_ldexp_f64 v[28:29], v[6:7], 1
	v_add_f64 v[6:7], v[34:35], v[54:55]
	v_add_f64 v[48:49], v[48:49], -v[30:31]
	v_add_f64 v[22:23], v[22:23], v[48:49]
	v_mul_f64 v[48:49], v[6:7], v[30:31]
	v_add_f64 v[34:35], v[6:7], -v[34:35]
	v_fma_f64 v[50:51], v[6:7], v[30:31], -v[48:49]
	v_add_f64 v[34:35], v[54:55], -v[34:35]
	v_fmac_f64_e32 v[50:51], v[6:7], v[22:23]
	v_fmac_f64_e32 v[50:51], v[34:35], v[30:31]
	v_add_f64 v[6:7], v[48:49], v[50:51]
	v_add_f64 v[22:23], v[6:7], -v[48:49]
	v_add_f64 v[30:31], v[28:29], v[6:7]
	v_add_f64 v[22:23], v[50:51], -v[22:23]
	v_add_f64 v[28:29], v[30:31], -v[28:29]
	;; [unrolled: 1-line block ×3, first 2 shown]
	v_add_f64 v[22:23], v[32:33], v[22:23]
	v_add_f64 v[6:7], v[22:23], v[6:7]
	;; [unrolled: 1-line block ×3, first 2 shown]
	v_add_f64 v[28:29], v[22:23], -v[30:31]
	v_add_f64 v[6:7], v[6:7], -v[28:29]
	v_add_f64 v[28:29], v[20:21], v[22:23]
	v_add_f64 v[30:31], v[28:29], -v[20:21]
	v_add_f64 v[32:33], v[28:29], -v[30:31]
	;; [unrolled: 1-line block ×4, first 2 shown]
	v_add_f64 v[20:21], v[22:23], v[20:21]
	v_add_f64 v[22:23], v[52:53], v[6:7]
	v_add_f64 v[30:31], v[22:23], -v[52:53]
	v_add_f64 v[20:21], v[22:23], v[20:21]
	v_add_f64 v[32:33], v[22:23], -v[30:31]
	;; [unrolled: 2-line block ×3, first 2 shown]
	v_add_f64 v[6:7], v[6:7], -v[30:31]
	v_add_f64 v[28:29], v[22:23], -v[28:29]
	v_add_f64 v[6:7], v[6:7], v[32:33]
	v_add_f64 v[20:21], v[20:21], -v[28:29]
	v_add_f64 v[6:7], v[6:7], v[20:21]
	v_add_f64 v[20:21], v[22:23], v[6:7]
	v_mov_b32_e32 v4, 0
	v_add_f64 v[22:23], v[20:21], -v[22:23]
	v_add_f64 v[6:7], v[6:7], -v[22:23]
	v_mul_f64 v[22:23], v[4:5], v[20:21]
	v_fma_f64 v[20:21], v[4:5], v[20:21], -v[22:23]
	v_fmac_f64_e32 v[20:21], v[4:5], v[6:7]
	s_movk_i32 s74, 0x204
	v_add_f64 v[4:5], v[22:23], v[20:21]
	v_cmp_class_f64_e64 vcc, v[22:23], s74
	v_add_f64 v[6:7], v[4:5], -v[22:23]
	s_mov_b32 s1, 0x3ff71547
	v_cndmask_b32_e32 v5, v5, v23, vcc
	v_cndmask_b32_e32 v4, v4, v22, vcc
	v_add_f64 v[6:7], v[20:21], -v[6:7]
	v_mul_f64 v[20:21], v[4:5], s[0:1]
	v_rndne_f64_e32 v[20:21], v[20:21]
	v_fma_f64 v[22:23], s[24:25], v[20:21], v[4:5]
	v_fmac_f64_e32 v[22:23], s[26:27], v[20:21]
	v_fmac_f64_e32 v[0:1], s[28:29], v[22:23]
	v_fma_f64 v[0:1], v[22:23], v[0:1], s[40:41]
	v_fma_f64 v[0:1], v[22:23], v[0:1], s[42:43]
	;; [unrolled: 1-line block ×5, first 2 shown]
	s_mov_b32 s72, 0
	v_fma_f64 v[0:1], v[22:23], v[0:1], s[58:59]
	s_mov_b32 s73, 0x7ff00000
	v_fma_f64 v[0:1], v[22:23], v[0:1], s[60:61]
	s_mov_b32 s0, 0
	v_cmp_neq_f64_e64 vcc, |v[4:5]|, s[72:73]
	v_fma_f64 v[0:1], v[22:23], v[0:1], s[62:63]
	s_mov_b32 s1, 0x40900000
	v_cndmask_b32_e32 v7, 0, v7, vcc
	v_cndmask_b32_e32 v6, 0, v6, vcc
	v_fma_f64 v[0:1], v[22:23], v[0:1], 1.0
	v_cmp_nlt_f64_e32 vcc, s[0:1], v[4:5]
	s_mov_b32 s0, 0
	v_fma_f64 v[0:1], v[22:23], v[0:1], 1.0
	v_cvt_i32_f64_e32 v20, v[20:21]
	s_mov_b32 s1, 0xc090cc00
	v_ldexp_f64 v[0:1], v[0:1], v20
	v_mov_b32_e32 v20, 0x7ff00000
	v_cmp_ngt_f64_e64 s[0:1], s[0:1], v[4:5]
	v_cndmask_b32_e32 v1, v20, v1, vcc
	s_and_b64 vcc, s[0:1], vcc
	v_cndmask_b32_e64 v1, 0, v1, s[0:1]
	v_cndmask_b32_e32 v0, 0, v0, vcc
	v_mov_b64_e32 v[4:5], v[0:1]
	v_fmac_f64_e32 v[4:5], v[4:5], v[6:7]
	v_cmp_class_f64_e64 vcc, v[0:1], s74
	s_mov_b32 s0, 0x73219d23
	s_mov_b32 s1, 0xbf61f398
	v_cndmask_b32_e32 v1, v5, v1, vcc
	v_cndmask_b32_e32 v0, v4, v0, vcc
	v_mul_f64 v[30:31], v[2:3], |v[0:1]|
	v_mov_b32_e32 v0, 0xf4720604
	v_mov_b32_e32 v1, 0xbfbe7de0
	v_fmac_f64_e32 v[0:1], s[0:1], v[10:11]
	s_mov_b32 s1, 0xc0212d61
	s_mov_b32 s0, 0xa833213e
	v_add_f64 v[2:3], v[10:11], s[0:1]
	s_mov_b32 s1, 0x40212d61
	v_div_scale_f64 v[4:5], s[24:25], v[2:3], v[2:3], s[0:1]
	v_rcp_f64_e32 v[6:7], v[4:5]
	v_mov_b32_e32 v20, 0xca767e40
	v_mov_b32_e32 v21, 0xbfe801f4
	v_fmac_f64_e32 v[20:21], v[10:11], v[0:1]
	v_fma_f64 v[0:1], -v[4:5], v[6:7], 1.0
	v_fmac_f64_e32 v[6:7], v[6:7], v[0:1]
	v_fma_f64 v[0:1], -v[4:5], v[6:7], 1.0
	v_fmac_f64_e32 v[6:7], v[6:7], v[0:1]
	v_div_scale_f64 v[0:1], vcc, s[0:1], v[2:3], s[0:1]
	v_mul_f64 v[22:23], v[0:1], v[6:7]
	v_fma_f64 v[0:1], -v[4:5], v[22:23], v[0:1]
	s_nop 1
	v_div_fmas_f64 v[0:1], v[0:1], v[6:7], v[22:23]
	v_div_fixup_f64 v[6:7], v[0:1], v[2:3], s[0:1]
	s_mov_b32 s0, 0xca57d62
	v_mov_b32_e32 v0, 0x375fd124
	v_mov_b32_e32 v1, 0xbfa707e8
	s_mov_b32 s1, 0xbf4fa613
	v_fmac_f64_e32 v[0:1], s[0:1], v[10:11]
	s_mov_b32 s1, 0xc00f6a6b
	s_mov_b32 s0, 0xd7175b27
	v_add_f64 v[2:3], v[10:11], s[0:1]
	s_mov_b32 s1, 0x400f6a6b
	v_div_scale_f64 v[4:5], s[24:25], v[2:3], v[2:3], s[0:1]
	v_fmac_f64_e32 v[6:7], v[20:21], v[30:31]
	v_rcp_f64_e32 v[20:21], v[4:5]
	v_mov_b32_e32 v22, 0xa731c764
	v_mov_b32_e32 v23, 0x3fe37b28
	v_fmac_f64_e32 v[22:23], v[10:11], v[0:1]
	v_fma_f64 v[0:1], -v[4:5], v[20:21], 1.0
	v_fmac_f64_e32 v[20:21], v[20:21], v[0:1]
	v_fma_f64 v[0:1], -v[4:5], v[20:21], 1.0
	v_fmac_f64_e32 v[20:21], v[20:21], v[0:1]
	v_div_scale_f64 v[0:1], vcc, s[0:1], v[2:3], s[0:1]
	v_mul_f64 v[28:29], v[0:1], v[20:21]
	v_fma_f64 v[0:1], -v[4:5], v[28:29], v[0:1]
	s_nop 1
	v_div_fmas_f64 v[0:1], v[0:1], v[20:21], v[28:29]
	v_div_fixup_f64 v[4:5], v[0:1], v[2:3], s[0:1]
	s_mov_b32 s0, 0x65435abc
	v_mov_b32_e32 v0, 0x27365a80
	v_mov_b32_e32 v1, 0xbf829efe
	s_mov_b32 s1, 0xbf37c2e9
	v_fmac_f64_e32 v[0:1], s[0:1], v[10:11]
	s_mov_b32 s1, 0xbff56cf1
	s_mov_b32 s0, 0x472aa3dd
	v_add_f64 v[2:3], v[10:11], s[0:1]
	s_mov_b32 s1, 0x3ff56cf1
	v_div_scale_f64 v[20:21], s[24:25], v[2:3], v[2:3], s[0:1]
	v_fmac_f64_e32 v[4:5], v[22:23], v[30:31]
	;; [unrolled: 25-line block ×3, first 2 shown]
	v_rcp_f64_e32 v[28:29], v[22:23]
	v_mov_b32_e32 v32, 0xb3849783
	v_mov_b32_e32 v33, 0x3f91e451
	v_fmac_f64_e32 v[32:33], v[10:11], v[0:1]
	v_fma_f64 v[0:1], -v[22:23], v[28:29], 1.0
	v_fmac_f64_e32 v[28:29], v[28:29], v[0:1]
	v_fma_f64 v[0:1], -v[22:23], v[28:29], 1.0
	v_fmac_f64_e32 v[28:29], v[28:29], v[0:1]
	v_div_scale_f64 v[0:1], vcc, s[0:1], v[20:21], s[0:1]
	v_mul_f64 v[34:35], v[0:1], v[28:29]
	v_fma_f64 v[0:1], -v[22:23], v[34:35], v[0:1]
	v_mov_b32_e32 v22, 0xd6d83a5
	s_nop 0
	v_div_fmas_f64 v[0:1], v[0:1], v[28:29], v[34:35]
	v_div_fixup_f64 v[0:1], v[0:1], v[20:21], s[0:1]
	s_mov_b32 s0, 0xec42c863
	v_mov_b32_e32 v20, 0x6e03bb1d
	v_mov_b32_e32 v21, 0xbf14b025
	s_mov_b32 s1, 0x3ed82f89
	v_fmac_f64_e32 v[20:21], s[0:1], v[10:11]
	v_mov_b32_e32 v23, 0x3f3583ed
	v_fmac_f64_e32 v[22:23], v[10:11], v[20:21]
	s_mov_b32 s0, 0x999f3b2
	v_mul_f64 v[50:51], v[22:23], v[30:31]
	s_mov_b32 s1, 0x3f2d856f
	v_fmac_f64_e32 v[50:51], s[0:1], v[26:27]
	s_mov_b32 s0, 0x2abb056e
	v_mov_b32_e32 v20, 0xc363f0e3
	v_mov_b32_e32 v21, 0xbf6eec89
	s_mov_b32 s1, 0x3f2b4d38
	v_fmac_f64_e32 v[20:21], s[0:1], v[10:11]
	v_mov_b32_e32 v22, 0x813620f6
	v_mov_b32_e32 v23, 0x3f957d47
	v_fmac_f64_e32 v[22:23], v[10:11], v[20:21]
	s_mov_b32 s0, 0x5a77e739
	v_mul_f64 v[48:49], v[22:23], v[30:31]
	s_mov_b32 s1, 0x3f93bba1
	v_fmac_f64_e32 v[48:49], s[0:1], v[26:27]
	s_mov_b32 s0, 0x326ec13e
	v_mov_b32_e32 v20, 0x3f893c63
	v_mov_b32_e32 v21, 0xbf89f358
	s_mov_b32 s1, 0x3f443286
	v_fmac_f64_e32 v[20:21], s[0:1], v[10:11]
	v_mov_b32_e32 v22, 0x72d00ae0
	v_mov_b32_e32 v23, 0x3fb4d9f0
	v_fmac_f64_e32 v[22:23], v[10:11], v[20:21]
	s_mov_b32 s0, 0x41317cef
	v_mul_f64 v[54:55], v[22:23], v[30:31]
	s_mov_b32 s1, 0x3fce036f
	v_fmac_f64_e32 v[54:55], s[0:1], v[26:27]
	v_add_f64 v[10:11], v[26:27], -v[54:55]
	v_add_f64 v[10:11], v[10:11], -v[48:49]
	v_fmac_f64_e32 v[0:1], v[32:33], v[30:31]
	v_add_f64 v[52:53], v[10:11], -v[50:51]
                                        ; implicit-def: $vgpr10_vgpr11
                                        ; implicit-def: $vgpr26_vgpr27
.LBB0_70:
	s_andn2_saveexec_b64 s[0:1], s[22:23]
	s_cbranch_execz .LBB0_72
; %bb.71:
	s_mov_b32 s23, 0xbfc2994e
	s_mov_b32 s22, 0x486cd916
	v_add_f64 v[0:1], v[10:11], s[22:23]
	s_mov_b32 s23, 0x3fc2994e
	v_div_scale_f64 v[2:3], s[24:25], v[0:1], v[0:1], s[22:23]
	v_rcp_f64_e32 v[4:5], v[2:3]
	s_mov_b32 s25, 0xbff56cf1
	s_mov_b32 s24, 0x472aa3dd
	v_fma_f64 v[6:7], -v[2:3], v[4:5], 1.0
	v_fmac_f64_e32 v[4:5], v[4:5], v[6:7]
	v_fma_f64 v[6:7], -v[2:3], v[4:5], 1.0
	v_fmac_f64_e32 v[4:5], v[4:5], v[6:7]
	v_div_scale_f64 v[6:7], vcc, s[22:23], v[0:1], s[22:23]
	v_mul_f64 v[20:21], v[6:7], v[4:5]
	v_fma_f64 v[2:3], -v[2:3], v[20:21], v[6:7]
	v_add_f64 v[6:7], v[10:11], s[24:25]
	s_mov_b32 s25, 0x3ff56cf1
	v_div_scale_f64 v[22:23], s[26:27], v[6:7], v[6:7], s[24:25]
	v_rcp_f64_e32 v[28:29], v[22:23]
	v_div_fmas_f64 v[2:3], v[2:3], v[4:5], v[20:21]
	v_div_fixup_f64 v[0:1], v[2:3], v[0:1], s[22:23]
	s_mov_b32 s23, 0xc00f6a6b
	v_fma_f64 v[2:3], -v[22:23], v[28:29], 1.0
	v_fmac_f64_e32 v[28:29], v[28:29], v[2:3]
	v_fma_f64 v[2:3], -v[22:23], v[28:29], 1.0
	v_fmac_f64_e32 v[28:29], v[28:29], v[2:3]
	v_div_scale_f64 v[2:3], vcc, s[24:25], v[6:7], s[24:25]
	s_mov_b32 s22, 0xd7175b27
	v_mul_f64 v[4:5], v[2:3], v[28:29]
	v_add_f64 v[20:21], v[10:11], s[22:23]
	s_mov_b32 s23, 0x400f6a6b
	v_fma_f64 v[2:3], -v[22:23], v[4:5], v[2:3]
	v_div_scale_f64 v[22:23], s[26:27], v[20:21], v[20:21], s[22:23]
	v_rcp_f64_e32 v[30:31], v[22:23]
	v_div_fmas_f64 v[2:3], v[2:3], v[28:29], v[4:5]
	v_div_fixup_f64 v[2:3], v[2:3], v[6:7], s[24:25]
	s_mov_b32 s25, 0xc0212d61
	v_fma_f64 v[4:5], -v[22:23], v[30:31], 1.0
	v_fmac_f64_e32 v[30:31], v[30:31], v[4:5]
	v_fma_f64 v[4:5], -v[22:23], v[30:31], 1.0
	v_fmac_f64_e32 v[30:31], v[30:31], v[4:5]
	v_div_scale_f64 v[4:5], vcc, s[22:23], v[20:21], s[22:23]
	s_mov_b32 s24, 0xa833213e
	v_mul_f64 v[6:7], v[4:5], v[30:31]
	v_add_f64 v[10:11], v[10:11], s[24:25]
	s_mov_b32 s25, 0x40212d61
	v_fma_f64 v[4:5], -v[22:23], v[6:7], v[4:5]
	v_div_scale_f64 v[22:23], s[26:27], v[10:11], v[10:11], s[24:25]
	v_rcp_f64_e32 v[28:29], v[22:23]
	v_div_fmas_f64 v[4:5], v[4:5], v[30:31], v[6:7]
	v_div_fixup_f64 v[4:5], v[4:5], v[20:21], s[22:23]
	s_mov_b32 s27, 0x3fce036f
	v_fma_f64 v[6:7], -v[22:23], v[28:29], 1.0
	v_fmac_f64_e32 v[28:29], v[28:29], v[6:7]
	v_fma_f64 v[6:7], -v[22:23], v[28:29], 1.0
	v_fmac_f64_e32 v[28:29], v[28:29], v[6:7]
	v_div_scale_f64 v[6:7], vcc, s[24:25], v[10:11], s[24:25]
	v_mul_f64 v[20:21], v[6:7], v[28:29]
	v_fma_f64 v[6:7], -v[22:23], v[20:21], v[6:7]
	s_mov_b32 s26, 0x41317cef
	s_nop 0
	v_div_fmas_f64 v[6:7], v[6:7], v[28:29], v[20:21]
	v_div_fixup_f64 v[6:7], v[6:7], v[10:11], s[24:25]
	s_mov_b32 s25, 0x3f93bba1
	s_mov_b32 s24, 0x5a77e739
	v_mul_f64 v[54:55], v[26:27], s[26:27]
	s_mov_b32 s27, 0xbfce036f
	s_mov_b32 s23, 0x3f2d856f
	;; [unrolled: 1-line block ×3, first 2 shown]
	v_mul_f64 v[48:49], v[26:27], s[24:25]
	v_fma_f64 v[52:53], s[26:27], v[26:27], v[26:27]
	s_mov_b32 s25, 0xbf93bba1
	v_mul_f64 v[50:51], v[26:27], s[22:23]
	v_fmac_f64_e32 v[52:53], s[24:25], v[26:27]
	s_mov_b32 s23, 0xbf2d856f
	v_fmac_f64_e32 v[52:53], s[22:23], v[26:27]
.LBB0_72:
	s_or_b64 exec, exec, s[0:1]
.LBB0_73:
	s_or_b64 exec, exec, s[20:21]
.LBB0_74:
	s_or_b64 exec, exec, s[18:19]
.LBB0_75:
	s_or_b64 exec, exec, s[16:17]
.LBB0_76:
	s_or_b64 exec, exec, s[14:15]
.LBB0_77:
	s_or_b64 exec, exec, s[12:13]
.LBB0_78:
	s_or_b64 exec, exec, s[10:11]
.LBB0_79:
	s_or_b64 exec, exec, s[8:9]
	scratch_store_dwordx4 off, v[0:3], s33 offset:192
	scratch_store_dwordx4 off, v[52:55], s33 offset:256
	;; [unrolled: 1-line block ×4, first 2 shown]
.LBB0_80:
	s_or_b64 exec, exec, s[6:7]
.LBB0_81:
	s_or_b64 exec, exec, s[4:5]
                                        ; implicit-def: $vgpr10_vgpr11
.LBB0_82:
	s_andn2_saveexec_b64 s[0:1], s[2:3]
	s_cbranch_execz .LBB0_221
; %bb.83:
	s_mov_b32 s2, 0xf40d8376
	s_mov_b32 s3, 0x3e9421f5
	v_cmp_ngt_f64_e32 vcc, s[2:3], v[10:11]
                                        ; implicit-def: $vgpr6_vgpr7
                                        ; implicit-def: $vgpr30_vgpr31
                                        ; implicit-def: $vgpr2_vgpr3
                                        ; implicit-def: $vgpr26_vgpr27
                                        ; implicit-def: $vgpr4_vgpr5
                                        ; implicit-def: $vgpr0_vgpr1
	s_and_saveexec_b64 s[2:3], vcc
	s_xor_b64 s[2:3], exec, s[2:3]
	s_cbranch_execz .LBB0_202
; %bb.84:
	v_cmp_ngt_f64_e32 vcc, 1.0, v[10:11]
                                        ; implicit-def: $vgpr6_vgpr7
                                        ; implicit-def: $vgpr30_vgpr31
                                        ; implicit-def: $vgpr2_vgpr3
                                        ; implicit-def: $vgpr26_vgpr27
                                        ; implicit-def: $vgpr4_vgpr5
                                        ; implicit-def: $vgpr0_vgpr1
	s_and_saveexec_b64 s[4:5], vcc
	s_xor_b64 s[4:5], exec, s[4:5]
	s_cbranch_execz .LBB0_188
; %bb.85:
	s_mov_b32 s6, 0
	s_mov_b32 s7, 0x40080000
	v_cmp_ngt_f64_e32 vcc, s[6:7], v[10:11]
                                        ; implicit-def: $vgpr6_vgpr7
                                        ; implicit-def: $vgpr30_vgpr31
                                        ; implicit-def: $vgpr2_vgpr3
                                        ; implicit-def: $vgpr26_vgpr27
                                        ; implicit-def: $vgpr4_vgpr5
                                        ; implicit-def: $vgpr0_vgpr1
	s_and_saveexec_b64 s[6:7], vcc
	s_xor_b64 s[6:7], exec, s[6:7]
	s_cbranch_execz .LBB0_174
; %bb.86:
	s_mov_b32 s8, 0
	s_mov_b32 s9, 0x40140000
	v_cmp_ngt_f64_e32 vcc, s[8:9], v[10:11]
	;; [unrolled: 13-line block ×5, first 2 shown]
                                        ; implicit-def: $vgpr6_vgpr7
                                        ; implicit-def: $vgpr30_vgpr31
                                        ; implicit-def: $vgpr2_vgpr3
                                        ; implicit-def: $vgpr26_vgpr27
                                        ; implicit-def: $vgpr4_vgpr5
                                        ; implicit-def: $vgpr0_vgpr1
	s_and_saveexec_b64 s[14:15], vcc
	s_xor_b64 s[14:15], exec, s[14:15]
	s_cbranch_execz .LBB0_111
; %bb.90:
	s_mov_b32 s16, 0x54442d15
	s_mov_b32 s17, 0x3fe921fb
	v_div_scale_f64 v[0:1], s[18:19], v[10:11], v[10:11], s[16:17]
	v_rcp_f64_e32 v[2:3], v[0:1]
                                        ; implicit-def: $vgpr30_vgpr31
                                        ; implicit-def: $vgpr26_vgpr27
	s_nop 0
	v_fma_f64 v[4:5], -v[0:1], v[2:3], 1.0
	v_fmac_f64_e32 v[2:3], v[2:3], v[4:5]
	v_fma_f64 v[4:5], -v[0:1], v[2:3], 1.0
	v_fmac_f64_e32 v[2:3], v[2:3], v[4:5]
	v_div_scale_f64 v[4:5], vcc, s[16:17], v[10:11], s[16:17]
	v_mul_f64 v[6:7], v[4:5], v[2:3]
	v_fma_f64 v[0:1], -v[0:1], v[6:7], v[4:5]
	s_nop 1
	v_div_fmas_f64 v[0:1], v[0:1], v[2:3], v[6:7]
	v_div_fixup_f64 v[0:1], v[0:1], v[10:11], s[16:17]
	s_mov_b32 s16, 0
	s_brev_b32 s17, 8
	v_mov_b32_e32 v2, 0x100
	v_cmp_gt_f64_e32 vcc, s[16:17], v[0:1]
	s_nop 1
	v_cndmask_b32_e32 v2, 0, v2, vcc
	v_ldexp_f64 v[0:1], v[0:1], v2
	v_rsq_f64_e32 v[2:3], v[0:1]
	s_nop 0
	v_mul_f64 v[4:5], v[0:1], v[2:3]
	v_mul_f64 v[2:3], v[2:3], 0.5
	v_fma_f64 v[6:7], -v[2:3], v[4:5], 0.5
	v_fmac_f64_e32 v[4:5], v[4:5], v[6:7]
	v_fma_f64 v[20:21], -v[4:5], v[4:5], v[0:1]
	v_fmac_f64_e32 v[2:3], v[2:3], v[6:7]
	v_fmac_f64_e32 v[4:5], v[20:21], v[2:3]
	v_fma_f64 v[6:7], -v[4:5], v[4:5], v[0:1]
	v_fmac_f64_e32 v[4:5], v[6:7], v[2:3]
	v_mov_b32_e32 v2, 0xffffff80
	v_cndmask_b32_e32 v2, 0, v2, vcc
	v_ldexp_f64 v[2:3], v[4:5], v2
	v_mov_b32_e32 v4, 0x260
	v_cmp_class_f64_e32 vcc, v[0:1], v4
                                        ; implicit-def: $vgpr6_vgpr7
                                        ; implicit-def: $vgpr4_vgpr5
	s_nop 1
	v_cndmask_b32_e32 v2, v2, v0, vcc
	scratch_load_dword v0, off, s33 offset:932 ; 4-byte Folded Reload
	v_cndmask_b32_e32 v3, v3, v1, vcc
	s_waitcnt vmcnt(0)
	v_cmp_lt_i32_e32 vcc, 0, v0
                                        ; implicit-def: $vgpr0_vgpr1
	s_and_saveexec_b64 s[16:17], vcc
	s_xor_b64 s[16:17], exec, s[16:17]
	s_cbranch_execz .LBB0_106
; %bb.91:
	scratch_load_dword v0, off, s33 offset:932 ; 4-byte Folded Reload
                                        ; implicit-def: $vgpr6_vgpr7
                                        ; implicit-def: $vgpr30_vgpr31
                                        ; implicit-def: $vgpr26_vgpr27
                                        ; implicit-def: $vgpr4_vgpr5
	s_waitcnt vmcnt(0)
	v_cmp_lt_i32_e32 vcc, 1, v0
                                        ; implicit-def: $vgpr0_vgpr1
	s_and_saveexec_b64 s[18:19], vcc
	s_xor_b64 s[18:19], exec, s[18:19]
	s_cbranch_execz .LBB0_99
; %bb.92:
	scratch_load_dword v0, off, s33 offset:932 ; 4-byte Folded Reload
	v_mov_b64_e32 v[6:7], 0
	v_mov_b64_e32 v[30:31], 0
	;; [unrolled: 1-line block ×4, first 2 shown]
	s_waitcnt vmcnt(0)
	v_cmp_eq_u32_e32 vcc, 2, v0
	v_mov_b64_e32 v[0:1], 0
	s_and_saveexec_b64 s[20:21], vcc
	s_cbranch_execz .LBB0_98
; %bb.93:
	s_mov_b32 s22, 0
	s_mov_b32 s23, 0x40478000
	v_cmp_ngt_f64_e32 vcc, s[22:23], v[10:11]
                                        ; implicit-def: $vgpr6_vgpr7
                                        ; implicit-def: $vgpr30_vgpr31
                                        ; implicit-def: $vgpr26_vgpr27
                                        ; implicit-def: $vgpr4_vgpr5
                                        ; implicit-def: $vgpr0_vgpr1
	s_and_saveexec_b64 s[22:23], vcc
	s_xor_b64 s[22:23], exec, s[22:23]
	s_cbranch_execz .LBB0_95
; %bb.94:
	s_mov_b32 s25, 0xbfc85747
	s_mov_b32 s24, 0x227076b0
	v_add_f64 v[0:1], v[10:11], s[24:25]
	s_mov_b32 s25, 0x3fc85747
	v_div_scale_f64 v[4:5], s[26:27], v[0:1], v[0:1], s[24:25]
	v_rcp_f64_e32 v[6:7], v[4:5]
	s_mov_b32 s27, 0xbffc8d48
	s_mov_b32 s26, 0x44af141d
	v_fma_f64 v[20:21], -v[4:5], v[6:7], 1.0
	v_fmac_f64_e32 v[6:7], v[6:7], v[20:21]
	v_fma_f64 v[20:21], -v[4:5], v[6:7], 1.0
	v_fmac_f64_e32 v[6:7], v[6:7], v[20:21]
	v_div_scale_f64 v[20:21], vcc, s[24:25], v[0:1], s[24:25]
	v_mul_f64 v[22:23], v[20:21], v[6:7]
	v_fma_f64 v[4:5], -v[4:5], v[22:23], v[20:21]
	v_add_f64 v[20:21], v[10:11], s[26:27]
	s_mov_b32 s27, 0x3ffc8d48
	v_div_scale_f64 v[26:27], s[28:29], v[20:21], v[20:21], s[26:27]
	v_rcp_f64_e32 v[28:29], v[26:27]
	v_div_fmas_f64 v[4:5], v[4:5], v[6:7], v[22:23]
	v_div_fixup_f64 v[0:1], v[4:5], v[0:1], s[24:25]
	s_mov_b32 s25, 0xc01619f3
	v_fma_f64 v[4:5], -v[26:27], v[28:29], 1.0
	v_fmac_f64_e32 v[28:29], v[28:29], v[4:5]
	v_fma_f64 v[4:5], -v[26:27], v[28:29], 1.0
	s_mov_b32 s24, 0xb5c0b740
	v_fmac_f64_e32 v[28:29], v[28:29], v[4:5]
	v_div_scale_f64 v[4:5], vcc, s[26:27], v[20:21], s[26:27]
	v_add_f64 v[10:11], v[10:11], s[24:25]
	s_mov_b32 s25, 0x401619f3
	v_mul_f64 v[6:7], v[4:5], v[28:29]
	v_div_scale_f64 v[22:23], s[28:29], v[10:11], v[10:11], s[24:25]
	v_fma_f64 v[4:5], -v[26:27], v[6:7], v[4:5]
	v_rcp_f64_e32 v[26:27], v[22:23]
	v_div_fmas_f64 v[4:5], v[4:5], v[28:29], v[6:7]
	v_div_fixup_f64 v[4:5], v[4:5], v[20:21], s[26:27]
	s_mov_b32 s27, 0x3f74efde
	v_fma_f64 v[6:7], -v[22:23], v[26:27], 1.0
	v_fmac_f64_e32 v[26:27], v[26:27], v[6:7]
	v_fma_f64 v[6:7], -v[22:23], v[26:27], 1.0
	v_fmac_f64_e32 v[26:27], v[26:27], v[6:7]
	v_div_scale_f64 v[6:7], vcc, s[24:25], v[10:11], s[24:25]
	v_mul_f64 v[20:21], v[6:7], v[26:27]
	v_fma_f64 v[6:7], -v[22:23], v[20:21], v[6:7]
	s_mov_b32 s26, 0x4d84c79e
	s_nop 0
	v_div_fmas_f64 v[6:7], v[6:7], v[26:27], v[20:21]
	v_div_fixup_f64 v[26:27], v[6:7], v[10:11], s[24:25]
	s_mov_b32 s25, 0x3fc6af85
	s_mov_b32 s24, 0x8329214a
	v_mul_f64 v[30:31], v[2:3], s[24:25]
	s_mov_b32 s25, 0xbfc6af85
	v_mul_f64 v[6:7], v[2:3], s[26:27]
	v_fma_f64 v[10:11], s[24:25], v[2:3], v[2:3]
	s_mov_b32 s27, 0xbf74efde
	v_fmac_f64_e32 v[10:11], s[26:27], v[2:3]
	v_mov_b64_e32 v[2:3], v[10:11]
                                        ; implicit-def: $vgpr10_vgpr11
.LBB0_95:
	s_andn2_saveexec_b64 s[22:23], s[22:23]
	s_cbranch_execz .LBB0_97
; %bb.96:
	s_mov_b32 s24, 0x652b82fe
	s_mov_b32 s25, 0xbff71547
	v_mul_f64 v[0:1], v[10:11], s[24:25]
	s_mov_b32 s24, 0xfefa39ef
	v_rndne_f64_e32 v[0:1], v[0:1]
	s_mov_b32 s25, 0xbfe62e42
	v_fma_f64 v[4:5], v[0:1], s[24:25], -v[10:11]
	s_mov_b32 s24, 0x3b39803f
	s_mov_b32 s25, 0xbc7abc9e
	v_fmac_f64_e32 v[4:5], s[24:25], v[0:1]
	s_mov_b32 s24, 0x6a5dcb37
	v_mov_b32_e32 v6, 0xfca7ab0c
	v_mov_b32_e32 v7, 0x3e928af3
	s_mov_b32 s25, 0x3e5ade15
	v_fmac_f64_e32 v[6:7], s[24:25], v[4:5]
	v_mov_b32_e32 v20, 0x623fde64
	v_mov_b32_e32 v21, 0x3ec71dee
	v_fmac_f64_e32 v[20:21], v[4:5], v[6:7]
	v_mov_b32_e32 v6, 0x7c89e6b0
	v_mov_b32_e32 v7, 0x3efa0199
	;; [unrolled: 3-line block ×8, first 2 shown]
	v_fmac_f64_e32 v[6:7], v[4:5], v[20:21]
	v_fma_f64 v[6:7], v[4:5], v[6:7], 1.0
	v_fma_f64 v[4:5], v[4:5], v[6:7], 1.0
	v_cvt_i32_f64_e32 v0, v[0:1]
	s_mov_b32 s24, 0x6e2adcdd
	v_ldexp_f64 v[30:31], v[4:5], v0
	v_mov_b32_e32 v0, 0xf8d19143
	v_mov_b32_e32 v1, 0x40741517
	s_mov_b32 s25, 0xc01d8ff5
	v_fmac_f64_e32 v[0:1], s[24:25], v[10:11]
	s_mov_b32 s25, 0xbfc85747
	s_mov_b32 s24, 0x227076b0
	v_add_f64 v[4:5], v[10:11], s[24:25]
	s_mov_b32 s25, 0x3fc85747
	v_div_scale_f64 v[6:7], s[26:27], v[4:5], v[4:5], s[24:25]
	v_rcp_f64_e32 v[20:21], v[6:7]
	v_mov_b32_e32 v22, 0x86a45708
	v_mov_b32_e32 v23, 0xc0af34ac
	v_fmac_f64_e32 v[22:23], v[10:11], v[0:1]
	v_fma_f64 v[0:1], -v[6:7], v[20:21], 1.0
	v_fmac_f64_e32 v[20:21], v[20:21], v[0:1]
	v_fma_f64 v[0:1], -v[6:7], v[20:21], 1.0
	v_fmac_f64_e32 v[20:21], v[20:21], v[0:1]
	v_div_scale_f64 v[0:1], vcc, s[24:25], v[4:5], s[24:25]
	v_mul_f64 v[26:27], v[0:1], v[20:21]
	v_fma_f64 v[0:1], -v[6:7], v[26:27], v[0:1]
	s_nop 1
	v_div_fmas_f64 v[0:1], v[0:1], v[20:21], v[26:27]
	v_div_fixup_f64 v[0:1], v[0:1], v[4:5], s[24:25]
	s_mov_b32 s24, 0x13f8e283
	v_mov_b32_e32 v4, 0x3a45ec1c
	v_mov_b32_e32 v5, 0x40a87f66
	s_mov_b32 s25, 0xc05277d9
	v_fmac_f64_e32 v[4:5], s[24:25], v[10:11]
	s_mov_b32 s25, 0xbffc8d48
	s_mov_b32 s24, 0x44af141d
	v_add_f64 v[6:7], v[10:11], s[24:25]
	s_mov_b32 s25, 0x3ffc8d48
	v_div_scale_f64 v[20:21], s[26:27], v[6:7], v[6:7], s[24:25]
	v_fmac_f64_e32 v[0:1], v[22:23], v[30:31]
	v_rcp_f64_e32 v[22:23], v[20:21]
	v_mov_b32_e32 v26, 0x2ce6c464
	v_mov_b32_e32 v27, 0xc0e2e3c9
	v_fmac_f64_e32 v[26:27], v[10:11], v[4:5]
	v_fma_f64 v[4:5], -v[20:21], v[22:23], 1.0
	v_fmac_f64_e32 v[22:23], v[22:23], v[4:5]
	v_fma_f64 v[4:5], -v[20:21], v[22:23], 1.0
	v_fmac_f64_e32 v[22:23], v[22:23], v[4:5]
	v_div_scale_f64 v[4:5], vcc, s[24:25], v[6:7], s[24:25]
	v_mul_f64 v[28:29], v[4:5], v[22:23]
	v_fma_f64 v[4:5], -v[20:21], v[28:29], v[4:5]
	s_nop 1
	v_div_fmas_f64 v[4:5], v[4:5], v[22:23], v[28:29]
	v_div_fixup_f64 v[4:5], v[4:5], v[6:7], s[24:25]
	s_mov_b32 s24, 0x50eddf20
	v_mov_b32_e32 v6, 0xc25f0059
	v_mov_b32_e32 v7, 0x40c4649b
	s_mov_b32 s25, 0xc0707c02
	v_fmac_f64_e32 v[6:7], s[24:25], v[10:11]
	s_mov_b32 s25, 0xc01619f3
	s_mov_b32 s24, 0xb5c0b740
	v_add_f64 v[20:21], v[10:11], s[24:25]
	s_mov_b32 s25, 0x401619f3
	v_div_scale_f64 v[22:23], s[26:27], v[20:21], v[20:21], s[24:25]
	v_fmac_f64_e32 v[4:5], v[26:27], v[30:31]
	v_rcp_f64_e32 v[26:27], v[22:23]
	v_mov_b32_e32 v28, 0x3f243651
	v_mov_b32_e32 v29, 0xc0ff45e9
	v_fmac_f64_e32 v[28:29], v[10:11], v[6:7]
	v_fma_f64 v[6:7], -v[22:23], v[26:27], 1.0
	v_fmac_f64_e32 v[26:27], v[26:27], v[6:7]
	v_fma_f64 v[6:7], -v[22:23], v[26:27], 1.0
	v_fmac_f64_e32 v[26:27], v[26:27], v[6:7]
	v_div_scale_f64 v[6:7], vcc, s[24:25], v[20:21], s[24:25]
	v_mul_f64 v[32:33], v[6:7], v[26:27]
	v_fma_f64 v[6:7], -v[22:23], v[32:33], v[6:7]
	v_mov_b32_e32 v22, 0xc516d25b
	s_nop 0
	v_div_fmas_f64 v[6:7], v[6:7], v[26:27], v[32:33]
	v_div_fixup_f64 v[26:27], v[6:7], v[20:21], s[24:25]
	s_mov_b32 s24, 0x9f6d40b0
	v_mov_b32_e32 v6, 0x2a665401
	v_mov_b32_e32 v7, 0xc0209cfd
	s_mov_b32 s25, 0x3fc37d38
	v_fmac_f64_e32 v[6:7], s[24:25], v[10:11]
	v_mov_b32_e32 v20, 0x993054c7
	v_mov_b32_e32 v21, 0x40681f46
	v_fmac_f64_e32 v[20:21], v[10:11], v[6:7]
	v_mov_b32_e32 v6, 0x5cbf58d1
	v_mov_b32_e32 v7, 0xc09a3784
	v_fmac_f64_e32 v[6:7], v[10:11], v[20:21]
	s_mov_b32 s24, 0x4d84c79e
	v_mul_f64 v[6:7], v[6:7], v[30:31]
	s_mov_b32 s25, 0x3f74efde
	v_fmac_f64_e32 v[6:7], s[24:25], v[2:3]
	s_mov_b32 s24, 0xf24b69ff
	v_mov_b32_e32 v20, 0xea39dc39
	v_mov_b32_e32 v21, 0xc0a6cf9c
	s_mov_b32 s25, 0x404ec0ed
	v_fmac_f64_e32 v[20:21], s[24:25], v[10:11]
	v_mov_b32_e32 v23, 0x40e297ed
	v_fmac_f64_e32 v[22:23], v[10:11], v[20:21]
	s_mov_b32 s24, 0x8329214a
	v_fmac_f64_e32 v[26:27], v[28:29], v[30:31]
	v_mul_f64 v[30:31], v[22:23], v[30:31]
	s_mov_b32 s25, 0x3fc6af85
	v_fmac_f64_e32 v[30:31], s[24:25], v[2:3]
	v_add_f64 v[2:3], v[2:3], -v[30:31]
	v_add_f64 v[2:3], v[2:3], -v[6:7]
.LBB0_97:
	s_or_b64 exec, exec, s[22:23]
.LBB0_98:
	s_or_b64 exec, exec, s[20:21]
                                        ; implicit-def: $vgpr10_vgpr11
.LBB0_99:
	s_andn2_saveexec_b64 s[18:19], s[18:19]
	s_cbranch_execz .LBB0_105
; %bb.100:
	s_mov_b32 s20, 0
	s_mov_b32 s21, 0x40440000
	v_cmp_ngt_f64_e32 vcc, s[20:21], v[10:11]
                                        ; implicit-def: $vgpr30_vgpr31
                                        ; implicit-def: $vgpr4_vgpr5
                                        ; implicit-def: $vgpr0_vgpr1
	s_and_saveexec_b64 s[20:21], vcc
	s_xor_b64 s[20:21], exec, s[20:21]
	s_cbranch_execz .LBB0_102
; %bb.101:
	s_mov_b32 s23, 0xbfd19dc7
	s_mov_b32 s22, 0xafdb7b47
	v_add_f64 v[0:1], v[10:11], s[22:23]
	s_mov_b32 s23, 0x3fd19dc7
	v_div_scale_f64 v[4:5], s[24:25], v[0:1], v[0:1], s[22:23]
	v_rcp_f64_e32 v[6:7], v[4:5]
	s_mov_b32 s25, 0xc005cc47
	s_mov_b32 s24, 0xa049083
	v_add_f64 v[10:11], v[10:11], s[24:25]
	v_fma_f64 v[20:21], -v[4:5], v[6:7], 1.0
	v_fmac_f64_e32 v[6:7], v[6:7], v[20:21]
	v_fma_f64 v[20:21], -v[4:5], v[6:7], 1.0
	v_fmac_f64_e32 v[6:7], v[6:7], v[20:21]
	v_div_scale_f64 v[20:21], vcc, s[22:23], v[0:1], s[22:23]
	v_mul_f64 v[22:23], v[20:21], v[6:7]
	s_mov_b32 s25, 0x4005cc47
	v_fma_f64 v[4:5], -v[4:5], v[22:23], v[20:21]
	v_div_scale_f64 v[20:21], s[26:27], v[10:11], v[10:11], s[24:25]
	v_rcp_f64_e32 v[26:27], v[20:21]
	v_div_fmas_f64 v[4:5], v[4:5], v[6:7], v[22:23]
	v_div_fixup_f64 v[0:1], v[4:5], v[0:1], s[22:23]
	s_mov_b32 s23, 0x3fb77d0a
	v_fma_f64 v[4:5], -v[20:21], v[26:27], 1.0
	v_fmac_f64_e32 v[26:27], v[26:27], v[4:5]
	v_fma_f64 v[4:5], -v[20:21], v[26:27], 1.0
	v_fmac_f64_e32 v[26:27], v[26:27], v[4:5]
	v_div_scale_f64 v[4:5], vcc, s[24:25], v[10:11], s[24:25]
	v_mul_f64 v[6:7], v[4:5], v[26:27]
	v_fma_f64 v[4:5], -v[20:21], v[6:7], v[4:5]
	s_mov_b32 s22, 0x3fcf4f02
	s_nop 0
	v_div_fmas_f64 v[4:5], v[4:5], v[26:27], v[6:7]
	v_mul_f64 v[30:31], v[2:3], s[22:23]
	s_mov_b32 s23, 0xbfb77d0a
	v_div_fixup_f64 v[4:5], v[4:5], v[10:11], s[24:25]
	v_fmac_f64_e32 v[2:3], s[22:23], v[2:3]
                                        ; implicit-def: $vgpr10_vgpr11
.LBB0_102:
	s_andn2_saveexec_b64 s[20:21], s[20:21]
	s_cbranch_execz .LBB0_104
; %bb.103:
	s_mov_b32 s22, 0x652b82fe
	s_mov_b32 s23, 0xbff71547
	v_mul_f64 v[0:1], v[10:11], s[22:23]
	s_mov_b32 s22, 0xfefa39ef
	v_rndne_f64_e32 v[0:1], v[0:1]
	s_mov_b32 s23, 0xbfe62e42
	v_fma_f64 v[4:5], v[0:1], s[22:23], -v[10:11]
	s_mov_b32 s22, 0x3b39803f
	s_mov_b32 s23, 0xbc7abc9e
	v_fmac_f64_e32 v[4:5], s[22:23], v[0:1]
	s_mov_b32 s22, 0x6a5dcb37
	v_mov_b32_e32 v6, 0xfca7ab0c
	v_mov_b32_e32 v7, 0x3e928af3
	s_mov_b32 s23, 0x3e5ade15
	v_fmac_f64_e32 v[6:7], s[22:23], v[4:5]
	v_mov_b32_e32 v20, 0x623fde64
	v_mov_b32_e32 v21, 0x3ec71dee
	v_fmac_f64_e32 v[20:21], v[4:5], v[6:7]
	v_mov_b32_e32 v6, 0x7c89e6b0
	v_mov_b32_e32 v7, 0x3efa0199
	;; [unrolled: 3-line block ×8, first 2 shown]
	v_fmac_f64_e32 v[6:7], v[4:5], v[20:21]
	v_fma_f64 v[6:7], v[4:5], v[6:7], 1.0
	v_fma_f64 v[4:5], v[4:5], v[6:7], 1.0
	v_cvt_i32_f64_e32 v0, v[0:1]
	s_mov_b32 s23, 0xbfd19dc7
	s_mov_b32 s22, 0xafdb7b47
	v_ldexp_f64 v[6:7], v[4:5], v0
	v_add_f64 v[0:1], v[10:11], s[22:23]
	s_mov_b32 s23, 0x3fd19dc7
	v_div_scale_f64 v[20:21], s[24:25], v[0:1], v[0:1], s[22:23]
	v_rcp_f64_e32 v[22:23], v[20:21]
	s_mov_b32 s24, 0x1a93ada1
	v_mov_b32_e32 v4, 0xe207c6a
	v_mov_b32_e32 v5, 0x4025d947
	v_fma_f64 v[26:27], -v[20:21], v[22:23], 1.0
	v_fmac_f64_e32 v[22:23], v[22:23], v[26:27]
	v_fma_f64 v[26:27], -v[20:21], v[22:23], 1.0
	v_fmac_f64_e32 v[22:23], v[22:23], v[26:27]
	v_div_scale_f64 v[26:27], vcc, s[22:23], v[0:1], s[22:23]
	v_mul_f64 v[28:29], v[26:27], v[22:23]
	v_fma_f64 v[20:21], -v[20:21], v[28:29], v[26:27]
	s_mov_b32 s25, 0xbfec2056
	s_nop 0
	v_div_fmas_f64 v[20:21], v[20:21], v[22:23], v[28:29]
	v_fmac_f64_e32 v[4:5], s[24:25], v[10:11]
	v_div_fixup_f64 v[0:1], v[20:21], v[0:1], s[22:23]
	s_mov_b32 s23, 0xc005cc47
	s_mov_b32 s22, 0xa049083
	v_fmac_f64_e32 v[0:1], v[4:5], v[6:7]
	v_add_f64 v[4:5], v[10:11], s[22:23]
	s_mov_b32 s23, 0x4005cc47
	v_div_scale_f64 v[22:23], s[24:25], v[4:5], v[4:5], s[22:23]
	v_rcp_f64_e32 v[26:27], v[22:23]
	s_mov_b32 s24, 0xf39dd3e0
	v_mov_b32_e32 v20, 0x749a077d
	v_mov_b32_e32 v21, 0x4054441c
	v_fma_f64 v[28:29], -v[22:23], v[26:27], 1.0
	v_fmac_f64_e32 v[26:27], v[26:27], v[28:29]
	v_fma_f64 v[28:29], -v[22:23], v[26:27], 1.0
	v_fmac_f64_e32 v[26:27], v[26:27], v[28:29]
	v_div_scale_f64 v[28:29], vcc, s[22:23], v[4:5], s[22:23]
	v_mul_f64 v[30:31], v[28:29], v[26:27]
	v_fma_f64 v[22:23], -v[22:23], v[30:31], v[28:29]
	s_mov_b32 s25, 0xc02293fc
	s_nop 0
	v_div_fmas_f64 v[22:23], v[22:23], v[26:27], v[30:31]
	v_fmac_f64_e32 v[20:21], s[24:25], v[10:11]
	v_div_fixup_f64 v[4:5], v[22:23], v[4:5], s[22:23]
	s_mov_b32 s22, 0xd5aa3881
	v_fmac_f64_e32 v[4:5], v[20:21], v[6:7]
	v_mov_b32_e32 v20, 0x45480ba2
	v_mov_b32_e32 v21, 0xc0537b34
	s_mov_b32 s23, 0x4011dfd1
	v_fmac_f64_e32 v[20:21], s[22:23], v[10:11]
	s_mov_b32 s22, 0x3fcf4f02
	v_mul_f64 v[30:31], v[20:21], v[6:7]
	s_mov_b32 s23, 0x3fb77d0a
	v_fmac_f64_e32 v[30:31], s[22:23], v[2:3]
	v_add_f64 v[2:3], v[2:3], -v[30:31]
.LBB0_104:
	s_or_b64 exec, exec, s[20:21]
	v_mov_b64_e32 v[6:7], 0
	v_mov_b64_e32 v[26:27], 0
.LBB0_105:
	s_or_b64 exec, exec, s[18:19]
                                        ; implicit-def: $vgpr10_vgpr11
.LBB0_106:
	s_andn2_saveexec_b64 s[16:17], s[16:17]
	s_cbranch_execz .LBB0_110
; %bb.107:
	scratch_load_dword v0, off, s33 offset:932 ; 4-byte Folded Reload
	v_mov_b64_e32 v[6:7], 0
	s_waitcnt vmcnt(0)
	v_cmp_eq_u32_e32 vcc, 0, v0
	v_mov_b64_e32 v[0:1], 0
	s_and_saveexec_b64 s[18:19], vcc
	s_cbranch_execz .LBB0_109
; %bb.108:
	v_add_f64 v[0:1], v[10:11], -0.5
	v_div_scale_f64 v[4:5], s[20:21], v[0:1], v[0:1], 0.5
	v_rcp_f64_e32 v[10:11], v[4:5]
	v_div_scale_f64 v[20:21], vcc, 0.5, v[0:1], 0.5
	v_fma_f64 v[22:23], -v[4:5], v[10:11], 1.0
	v_fmac_f64_e32 v[10:11], v[10:11], v[22:23]
	v_fma_f64 v[22:23], -v[4:5], v[10:11], 1.0
	v_fmac_f64_e32 v[10:11], v[10:11], v[22:23]
	v_mul_f64 v[22:23], v[20:21], v[10:11]
	v_fma_f64 v[4:5], -v[4:5], v[22:23], v[20:21]
	v_div_fmas_f64 v[4:5], v[4:5], v[10:11], v[22:23]
	v_div_fixup_f64 v[0:1], v[4:5], v[0:1], 0.5
.LBB0_109:
	s_or_b64 exec, exec, s[18:19]
	v_mov_b64_e32 v[30:31], 0
	v_mov_b64_e32 v[26:27], 0
	;; [unrolled: 1-line block ×3, first 2 shown]
.LBB0_110:
	s_or_b64 exec, exec, s[16:17]
                                        ; implicit-def: $vgpr10_vgpr11
.LBB0_111:
	s_andn2_saveexec_b64 s[14:15], s[14:15]
	s_cbranch_execz .LBB0_129
; %bb.112:
	s_mov_b32 s16, 0x652b82fe
	s_mov_b32 s17, 0xbff71547
	v_mul_f64 v[0:1], v[10:11], s[16:17]
	s_mov_b32 s16, 0xfefa39ef
	v_rndne_f64_e32 v[0:1], v[0:1]
	s_mov_b32 s17, 0xbfe62e42
	v_fma_f64 v[2:3], v[0:1], s[16:17], -v[10:11]
	s_mov_b32 s16, 0x3b39803f
	s_mov_b32 s17, 0xbc7abc9e
	v_fmac_f64_e32 v[2:3], s[16:17], v[0:1]
	s_mov_b32 s16, 0x6a5dcb37
	v_mov_b32_e32 v4, 0xfca7ab0c
	v_mov_b32_e32 v5, 0x3e928af3
	s_mov_b32 s17, 0x3e5ade15
	v_fmac_f64_e32 v[4:5], s[16:17], v[2:3]
	v_mov_b32_e32 v6, 0x623fde64
	v_mov_b32_e32 v7, 0x3ec71dee
	v_fmac_f64_e32 v[6:7], v[2:3], v[4:5]
	v_mov_b32_e32 v4, 0x7c89e6b0
	v_mov_b32_e32 v5, 0x3efa0199
	s_mov_b32 s16, 0xb4d0174d
	v_fmac_f64_e32 v[4:5], v[2:3], v[6:7]
	v_mov_b32_e32 v6, 0x14761f6e
	v_mov_b32_e32 v7, 0x3f2a01a0
	s_mov_b32 s17, 0x3fc91e26
	v_fmac_f64_e32 v[6:7], v[2:3], v[4:5]
	v_mov_b32_e32 v4, 0x1852b7b0
	v_mov_b32_e32 v5, 0x3f56c16c
	v_div_scale_f64 v[20:21], s[18:19], v[10:11], v[10:11], s[16:17]
	v_fmac_f64_e32 v[4:5], v[2:3], v[6:7]
	v_mov_b32_e32 v6, 0x11122322
	v_mov_b32_e32 v7, 0x3f811111
	v_rcp_f64_e32 v[22:23], v[20:21]
	v_fmac_f64_e32 v[6:7], v[2:3], v[4:5]
	v_mov_b32_e32 v4, 0x555502a1
	v_mov_b32_e32 v5, 0x3fa55555
	v_fmac_f64_e32 v[4:5], v[2:3], v[6:7]
	v_mov_b32_e32 v6, 0x55555511
	v_mov_b32_e32 v7, 0x3fc55555
	;; [unrolled: 3-line block ×3, first 2 shown]
	v_fmac_f64_e32 v[4:5], v[2:3], v[6:7]
	v_fma_f64 v[6:7], -v[20:21], v[22:23], 1.0
	v_fmac_f64_e32 v[22:23], v[22:23], v[6:7]
	v_fma_f64 v[6:7], -v[20:21], v[22:23], 1.0
	v_fmac_f64_e32 v[22:23], v[22:23], v[6:7]
	v_div_scale_f64 v[6:7], vcc, s[16:17], v[10:11], s[16:17]
	v_mul_f64 v[26:27], v[6:7], v[22:23]
	v_fma_f64 v[6:7], -v[20:21], v[26:27], v[6:7]
	v_fma_f64 v[4:5], v[2:3], v[4:5], 1.0
	s_nop 0
	v_div_fmas_f64 v[6:7], v[6:7], v[22:23], v[26:27]
	v_div_fixup_f64 v[6:7], v[6:7], v[10:11], s[16:17]
	s_mov_b32 s16, 0x80245b5f
	s_mov_b32 s17, 0xbfdfce11
	v_add_f64 v[6:7], v[6:7], s[16:17]
	v_div_scale_f64 v[20:21], s[16:17], v[10:11], v[10:11], v[6:7]
	v_rcp_f64_e32 v[22:23], v[20:21]
	v_fma_f64 v[2:3], v[2:3], v[4:5], 1.0
	v_cvt_i32_f64_e32 v0, v[0:1]
	v_ldexp_f64 v[50:51], v[2:3], v0
	v_fma_f64 v[0:1], -v[20:21], v[22:23], 1.0
	v_fmac_f64_e32 v[22:23], v[22:23], v[0:1]
	v_fma_f64 v[0:1], -v[20:21], v[22:23], 1.0
	s_mov_b32 s16, 0x54442d15
	v_fmac_f64_e32 v[22:23], v[22:23], v[0:1]
	v_div_scale_f64 v[0:1], vcc, v[6:7], v[10:11], v[6:7]
	s_mov_b32 s17, 0x3fe921fb
	v_mul_f64 v[2:3], v[0:1], v[22:23]
	v_div_scale_f64 v[4:5], s[18:19], v[10:11], v[10:11], s[16:17]
	v_fma_f64 v[0:1], -v[20:21], v[2:3], v[0:1]
	v_rcp_f64_e32 v[20:21], v[4:5]
	v_div_fmas_f64 v[0:1], v[0:1], v[22:23], v[2:3]
	v_div_fixup_f64 v[0:1], v[0:1], v[10:11], v[6:7]
	v_add_f64 v[52:53], v[10:11], v[10:11]
	v_fma_f64 v[2:3], -v[4:5], v[20:21], 1.0
	v_fmac_f64_e32 v[20:21], v[20:21], v[2:3]
	v_fma_f64 v[2:3], -v[4:5], v[20:21], 1.0
	v_fmac_f64_e32 v[20:21], v[20:21], v[2:3]
	v_div_scale_f64 v[2:3], vcc, s[16:17], v[10:11], s[16:17]
	v_mul_f64 v[6:7], v[2:3], v[20:21]
	v_fma_f64 v[2:3], -v[4:5], v[6:7], v[2:3]
	v_mov_b32_e32 v4, 0x100
	s_nop 0
	v_div_fmas_f64 v[2:3], v[2:3], v[20:21], v[6:7]
	v_div_fixup_f64 v[2:3], v[2:3], v[10:11], s[16:17]
	s_mov_b32 s16, 0
	s_brev_b32 s17, 8
	v_cmp_gt_f64_e32 vcc, s[16:17], v[2:3]
	s_mov_b32 s16, 0x6403a8cf
	s_mov_b32 s17, 0xbf0f8a14
	v_cndmask_b32_e32 v4, 0, v4, vcc
	v_ldexp_f64 v[2:3], v[2:3], v4
	v_rsq_f64_e32 v[4:5], v[2:3]
	v_add_f64 v[0:1], v[0:1], s[16:17]
                                        ; implicit-def: $vgpr30_vgpr31
                                        ; implicit-def: $vgpr26_vgpr27
	v_mul_f64 v[6:7], v[2:3], v[4:5]
	v_mul_f64 v[4:5], v[4:5], 0.5
	v_fma_f64 v[20:21], -v[4:5], v[6:7], 0.5
	v_fmac_f64_e32 v[6:7], v[6:7], v[20:21]
	v_fma_f64 v[22:23], -v[6:7], v[6:7], v[2:3]
	v_fmac_f64_e32 v[4:5], v[4:5], v[20:21]
	v_fmac_f64_e32 v[6:7], v[22:23], v[4:5]
	v_fma_f64 v[20:21], -v[6:7], v[6:7], v[2:3]
	v_fmac_f64_e32 v[6:7], v[20:21], v[4:5]
	v_mov_b32_e32 v4, 0xffffff80
	v_cndmask_b32_e32 v4, 0, v4, vcc
	v_ldexp_f64 v[4:5], v[6:7], v4
	v_mov_b32_e32 v6, 0x260
	v_cmp_class_f64_e32 vcc, v[2:3], v6
	s_nop 1
	v_cndmask_b32_e32 v3, v5, v3, vcc
	v_cndmask_b32_e32 v2, v4, v2, vcc
	v_fmac_f64_e32 v[2:3], v[0:1], v[50:51]
	v_add_f64 v[0:1], v[2:3], -v[50:51]
	v_div_scale_f64 v[4:5], s[16:17], v[52:53], v[52:53], v[0:1]
	v_rcp_f64_e32 v[6:7], v[4:5]
	s_nop 0
	v_fma_f64 v[20:21], -v[4:5], v[6:7], 1.0
	v_fmac_f64_e32 v[6:7], v[6:7], v[20:21]
	v_fma_f64 v[20:21], -v[4:5], v[6:7], 1.0
	v_fmac_f64_e32 v[6:7], v[6:7], v[20:21]
	v_div_scale_f64 v[20:21], vcc, v[0:1], v[52:53], v[0:1]
	v_mul_f64 v[22:23], v[20:21], v[6:7]
	v_fma_f64 v[4:5], -v[4:5], v[22:23], v[20:21]
	s_nop 1
	v_div_fmas_f64 v[4:5], v[4:5], v[6:7], v[22:23]
	v_div_fixup_f64 v[48:49], v[4:5], v[52:53], v[0:1]
	scratch_load_dword v0, off, s33 offset:932 ; 4-byte Folded Reload
                                        ; implicit-def: $vgpr6_vgpr7
                                        ; implicit-def: $vgpr4_vgpr5
	s_waitcnt vmcnt(0)
	v_cmp_lt_i32_e32 vcc, 0, v0
                                        ; implicit-def: $vgpr0_vgpr1
	s_and_saveexec_b64 s[16:17], vcc
	s_xor_b64 s[16:17], exec, s[16:17]
	s_cbranch_execz .LBB0_124
; %bb.113:
	scratch_load_dword v0, off, s33 offset:932 ; 4-byte Folded Reload
                                        ; implicit-def: $vgpr6_vgpr7
                                        ; implicit-def: $vgpr30_vgpr31
                                        ; implicit-def: $vgpr26_vgpr27
                                        ; implicit-def: $vgpr4_vgpr5
	s_waitcnt vmcnt(0)
	v_cmp_lt_i32_e32 vcc, 1, v0
                                        ; implicit-def: $vgpr0_vgpr1
	s_and_saveexec_b64 s[18:19], vcc
	s_xor_b64 s[18:19], exec, s[18:19]
	s_cbranch_execz .LBB0_121
; %bb.114:
	scratch_load_dword v0, off, s33 offset:932 ; 4-byte Folded Reload
	v_mov_b64_e32 v[6:7], 0
	v_mov_b64_e32 v[30:31], 0
	;; [unrolled: 1-line block ×4, first 2 shown]
	s_waitcnt vmcnt(0)
	v_cmp_eq_u32_e32 vcc, 2, v0
	v_mov_b64_e32 v[0:1], 0
	s_and_saveexec_b64 s[20:21], vcc
	s_cbranch_execz .LBB0_120
; %bb.115:
	s_mov_b32 s22, 0
	s_mov_b32 s23, 0x40340000
	v_cmp_ngt_f64_e32 vcc, s[22:23], v[10:11]
                                        ; implicit-def: $vgpr4_vgpr5
                                        ; implicit-def: $vgpr0_vgpr1
                                        ; implicit-def: $vgpr6_vgpr7
	s_and_saveexec_b64 s[22:23], vcc
	s_xor_b64 s[22:23], exec, s[22:23]
	s_cbranch_execz .LBB0_117
; %bb.116:
	s_mov_b32 s24, 0x43c565e2
	v_mov_b32_e32 v0, 0xd1a1d69c
	v_mov_b32_e32 v1, 0xbfa9a5c8
	s_mov_b32 s25, 0xbf404dd9
	v_fmac_f64_e32 v[0:1], s[24:25], v[10:11]
	s_mov_b32 s24, 0xea14de2
	v_mov_b32_e32 v4, 0x244805bc
	v_mov_b32_e32 v5, 0x3ff4f9d2
	s_mov_b32 s25, 0xc084a2c2
	v_fmac_f64_e32 v[4:5], v[10:11], v[0:1]
	v_div_scale_f64 v[0:1], s[26:27], v[10:11], v[10:11], s[24:25]
	v_rcp_f64_e32 v[6:7], v[0:1]
	v_mov_b32_e32 v20, 0x7dd2f38c
	v_mov_b32_e32 v21, 0xc032d569
	v_fmac_f64_e32 v[20:21], v[10:11], v[4:5]
	v_fma_f64 v[4:5], -v[0:1], v[6:7], 1.0
	v_fmac_f64_e32 v[6:7], v[6:7], v[4:5]
	v_fma_f64 v[4:5], -v[0:1], v[6:7], 1.0
	v_fmac_f64_e32 v[6:7], v[6:7], v[4:5]
	v_div_scale_f64 v[4:5], vcc, s[24:25], v[10:11], s[24:25]
	v_mul_f64 v[22:23], v[4:5], v[6:7]
	v_fma_f64 v[0:1], -v[0:1], v[22:23], v[4:5]
	s_nop 1
	v_div_fmas_f64 v[0:1], v[0:1], v[6:7], v[22:23]
	v_div_fixup_f64 v[0:1], v[0:1], v[10:11], s[24:25]
	s_mov_b32 s25, 0xbfc85747
	s_mov_b32 s24, 0x227076b0
	v_add_f64 v[4:5], v[10:11], s[24:25]
	s_mov_b32 s25, 0x3fc85747
	v_div_scale_f64 v[6:7], s[26:27], v[4:5], v[4:5], s[24:25]
	v_fmac_f64_e32 v[0:1], v[10:11], v[20:21]
	v_rcp_f64_e32 v[20:21], v[6:7]
	s_mov_b32 s26, 0x8a43a1c2
	s_mov_b32 s27, 0x40649dce
	v_add_f64 v[22:23], v[0:1], s[26:27]
	v_fma_f64 v[0:1], -v[6:7], v[20:21], 1.0
	v_fmac_f64_e32 v[20:21], v[20:21], v[0:1]
	v_fma_f64 v[0:1], -v[6:7], v[20:21], 1.0
	v_fmac_f64_e32 v[20:21], v[20:21], v[0:1]
	v_div_scale_f64 v[0:1], vcc, s[24:25], v[4:5], s[24:25]
	v_mul_f64 v[26:27], v[0:1], v[20:21]
	v_fma_f64 v[0:1], -v[6:7], v[26:27], v[0:1]
	v_mov_b32_e32 v6, 0x71f2e80a
	s_nop 0
	v_div_fmas_f64 v[0:1], v[0:1], v[20:21], v[26:27]
	v_div_fixup_f64 v[0:1], v[0:1], v[4:5], s[24:25]
	s_mov_b32 s24, 0x71a9f002
	v_mov_b32_e32 v4, 0x43d051e1
	v_mov_b32_e32 v5, 0xbfe08e52
	s_mov_b32 s25, 0xbf725bea
	v_fmac_f64_e32 v[4:5], s[24:25], v[10:11]
	s_mov_b32 s24, 0x5c9c2ca2
	v_mov_b32_e32 v7, 0x4026bcfb
	s_mov_b32 s25, 0xc0b8a517
	v_fmac_f64_e32 v[6:7], v[10:11], v[4:5]
	v_div_scale_f64 v[4:5], s[26:27], v[10:11], v[10:11], s[24:25]
	v_rcp_f64_e32 v[20:21], v[4:5]
	v_fmac_f64_e32 v[0:1], v[22:23], v[50:51]
	v_mov_b32_e32 v22, 0x2b1324d
	v_mov_b32_e32 v23, 0xc064ada5
	v_fmac_f64_e32 v[22:23], v[10:11], v[6:7]
	v_fma_f64 v[6:7], -v[4:5], v[20:21], 1.0
	v_fmac_f64_e32 v[20:21], v[20:21], v[6:7]
	v_fma_f64 v[6:7], -v[4:5], v[20:21], 1.0
	v_fmac_f64_e32 v[20:21], v[20:21], v[6:7]
	v_div_scale_f64 v[6:7], vcc, s[24:25], v[10:11], s[24:25]
	v_mul_f64 v[26:27], v[6:7], v[20:21]
	v_fma_f64 v[4:5], -v[4:5], v[26:27], v[6:7]
	s_nop 1
	v_div_fmas_f64 v[4:5], v[4:5], v[20:21], v[26:27]
	v_div_fixup_f64 v[4:5], v[4:5], v[10:11], s[24:25]
	s_mov_b32 s25, 0xbffc8d48
	s_mov_b32 s24, 0x44af141d
	v_add_f64 v[6:7], v[10:11], s[24:25]
	s_mov_b32 s25, 0x3ffc8d48
	v_div_scale_f64 v[20:21], s[26:27], v[6:7], v[6:7], s[24:25]
	v_fmac_f64_e32 v[4:5], v[10:11], v[22:23]
	v_rcp_f64_e32 v[22:23], v[20:21]
	s_mov_b32 s26, 0x32ede694
	s_mov_b32 s27, 0x4097c945
	v_add_f64 v[26:27], v[4:5], s[26:27]
	v_fma_f64 v[4:5], -v[20:21], v[22:23], 1.0
	v_fmac_f64_e32 v[22:23], v[22:23], v[4:5]
	v_fma_f64 v[4:5], -v[20:21], v[22:23], 1.0
	v_fmac_f64_e32 v[22:23], v[22:23], v[4:5]
	v_div_scale_f64 v[4:5], vcc, s[24:25], v[6:7], s[24:25]
	v_mul_f64 v[28:29], v[4:5], v[22:23]
	v_fma_f64 v[4:5], -v[20:21], v[28:29], v[4:5]
	v_mov_b32_e32 v20, 0xe792fa1f
	s_nop 0
	v_div_fmas_f64 v[4:5], v[4:5], v[22:23], v[28:29]
	v_div_fixup_f64 v[4:5], v[4:5], v[6:7], s[24:25]
	s_mov_b32 s24, 0xf1a94fb7
	v_mov_b32_e32 v6, 0x5839f8b4
	v_mov_b32_e32 v7, 0xbffc5df0
	s_mov_b32 s25, 0xbf8c567f
	v_fmac_f64_e32 v[6:7], s[24:25], v[10:11]
	s_mov_b32 s24, 0x2c8d13df
	v_mov_b32_e32 v21, 0x40315d28
	s_mov_b32 s25, 0xc0cc76bc
	v_fmac_f64_e32 v[20:21], v[10:11], v[6:7]
	v_div_scale_f64 v[6:7], s[26:27], v[10:11], v[10:11], s[24:25]
	v_rcp_f64_e32 v[22:23], v[6:7]
	v_fmac_f64_e32 v[4:5], v[26:27], v[50:51]
	v_mov_b32_e32 v26, 0x8a41e8b7
	v_mov_b32_e32 v27, 0xc07659d7
	v_fmac_f64_e32 v[26:27], v[10:11], v[20:21]
	v_fma_f64 v[20:21], -v[6:7], v[22:23], 1.0
	v_fmac_f64_e32 v[22:23], v[22:23], v[20:21]
	v_fma_f64 v[20:21], -v[6:7], v[22:23], 1.0
	v_fmac_f64_e32 v[22:23], v[22:23], v[20:21]
	v_div_scale_f64 v[20:21], vcc, s[24:25], v[10:11], s[24:25]
	v_mul_f64 v[28:29], v[20:21], v[22:23]
	v_fma_f64 v[6:7], -v[6:7], v[28:29], v[20:21]
	s_nop 1
	v_div_fmas_f64 v[6:7], v[6:7], v[22:23], v[28:29]
	v_div_fixup_f64 v[6:7], v[6:7], v[10:11], s[24:25]
	s_mov_b32 s24, 0xe32ed6f6
	v_fmac_f64_e32 v[6:7], v[10:11], v[26:27]
	s_mov_b32 s25, 0x40a514a2
	v_add_f64 v[6:7], v[6:7], s[24:25]
.LBB0_117:
	s_andn2_saveexec_b64 s[22:23], s[22:23]
	s_cbranch_execz .LBB0_119
; %bb.118:
	s_mov_b32 s24, 0x6916718b
	v_mov_b32_e32 v0, 0xcdc8f5a5
	v_mov_b32_e32 v1, 0x3f377496
	s_mov_b32 s25, 0xbec46834
	v_fmac_f64_e32 v[0:1], s[24:25], v[10:11]
	v_mov_b32_e32 v4, 0xd417330e
	v_mov_b32_e32 v5, 0xbf97f91d
	s_mov_b32 s24, 0xddb8407a
	v_fmac_f64_e32 v[4:5], v[10:11], v[0:1]
	;; [unrolled: 4-line block ×3, first 2 shown]
	v_div_scale_f64 v[4:5], s[26:27], v[10:11], v[10:11], s[24:25]
	v_rcp_f64_e32 v[6:7], v[4:5]
	v_mov_b32_e32 v20, 0xeeb9b55a
	v_mov_b32_e32 v21, 0xc0315227
	v_fmac_f64_e32 v[20:21], v[10:11], v[0:1]
	v_fma_f64 v[0:1], -v[4:5], v[6:7], 1.0
	v_fmac_f64_e32 v[6:7], v[6:7], v[0:1]
	v_fma_f64 v[0:1], -v[4:5], v[6:7], 1.0
	v_fmac_f64_e32 v[6:7], v[6:7], v[0:1]
	v_div_scale_f64 v[0:1], vcc, s[24:25], v[10:11], s[24:25]
	v_mul_f64 v[22:23], v[0:1], v[6:7]
	v_fma_f64 v[0:1], -v[4:5], v[22:23], v[0:1]
	s_nop 1
	v_div_fmas_f64 v[0:1], v[0:1], v[6:7], v[22:23]
	v_div_fixup_f64 v[0:1], v[0:1], v[10:11], s[24:25]
	s_mov_b32 s24, 0xf1fad81f
	s_mov_b32 s25, 0x40c33034
	v_add_f64 v[0:1], v[0:1], s[24:25]
	v_div_scale_f64 v[4:5], s[24:25], v[10:11], v[10:11], v[0:1]
	v_rcp_f64_e32 v[6:7], v[4:5]
	v_mov_b32_e32 v22, 0xd54b015d
	v_mov_b32_e32 v23, 0x406e708e
	v_fmac_f64_e32 v[22:23], v[10:11], v[20:21]
	v_fma_f64 v[20:21], -v[4:5], v[6:7], 1.0
	v_fmac_f64_e32 v[6:7], v[6:7], v[20:21]
	v_fma_f64 v[20:21], -v[4:5], v[6:7], 1.0
	v_fmac_f64_e32 v[6:7], v[6:7], v[20:21]
	v_div_scale_f64 v[20:21], vcc, v[0:1], v[10:11], v[0:1]
	v_mul_f64 v[26:27], v[20:21], v[6:7]
	v_fma_f64 v[4:5], -v[4:5], v[26:27], v[20:21]
	s_mov_b32 s25, 0xbfc85747
	s_nop 0
	v_div_fmas_f64 v[4:5], v[4:5], v[6:7], v[26:27]
	s_mov_b32 s24, 0x227076b0
	v_div_fixup_f64 v[0:1], v[4:5], v[10:11], v[0:1]
	v_add_f64 v[4:5], v[10:11], s[24:25]
	s_mov_b32 s25, 0x3fc85747
	v_div_scale_f64 v[6:7], s[26:27], v[4:5], v[4:5], s[24:25]
	v_rcp_f64_e32 v[20:21], v[6:7]
	s_mov_b32 s26, 0xebf84c5c
	v_fmac_f64_e32 v[0:1], v[10:11], v[22:23]
	s_mov_b32 s27, 0xc0a03f69
	v_add_f64 v[22:23], v[0:1], s[26:27]
	v_fma_f64 v[0:1], -v[6:7], v[20:21], 1.0
	v_fmac_f64_e32 v[20:21], v[20:21], v[0:1]
	v_fma_f64 v[0:1], -v[6:7], v[20:21], 1.0
	v_fmac_f64_e32 v[20:21], v[20:21], v[0:1]
	v_div_scale_f64 v[0:1], vcc, s[24:25], v[4:5], s[24:25]
	v_mul_f64 v[26:27], v[0:1], v[20:21]
	v_fma_f64 v[0:1], -v[6:7], v[26:27], v[0:1]
	s_nop 1
	v_div_fmas_f64 v[0:1], v[0:1], v[20:21], v[26:27]
	v_div_fixup_f64 v[0:1], v[0:1], v[4:5], s[24:25]
	s_mov_b32 s24, 0x6c5315c4
	v_mov_b32_e32 v4, 0x3ff9717c
	v_mov_b32_e32 v5, 0x3fa1e0e0
	s_mov_b32 s25, 0xbf313626
	v_fmac_f64_e32 v[4:5], s[24:25], v[10:11]
	s_mov_b32 s24, 0x9182ff23
	s_mov_b32 s25, 0xc14640a9
	v_div_scale_f64 v[6:7], s[26:27], v[10:11], v[10:11], s[24:25]
	v_rcp_f64_e32 v[20:21], v[6:7]
	v_fmac_f64_e32 v[0:1], v[22:23], v[50:51]
	v_mov_b32_e32 v22, 0x3b61349
	v_mov_b32_e32 v23, 0xc008bf3c
	v_fmac_f64_e32 v[22:23], v[10:11], v[4:5]
	v_fma_f64 v[4:5], -v[6:7], v[20:21], 1.0
	v_fmac_f64_e32 v[20:21], v[20:21], v[4:5]
	v_fma_f64 v[4:5], -v[6:7], v[20:21], 1.0
	v_fmac_f64_e32 v[20:21], v[20:21], v[4:5]
	v_div_scale_f64 v[4:5], vcc, s[24:25], v[10:11], s[24:25]
	v_mul_f64 v[26:27], v[4:5], v[20:21]
	v_fma_f64 v[4:5], -v[6:7], v[26:27], v[4:5]
	s_nop 1
	v_div_fmas_f64 v[4:5], v[4:5], v[20:21], v[26:27]
	v_div_fixup_f64 v[4:5], v[4:5], v[10:11], s[24:25]
	s_mov_b32 s24, 0xd790047
	s_mov_b32 s25, 0x413588df
	v_add_f64 v[4:5], v[4:5], s[24:25]
	v_div_scale_f64 v[6:7], s[24:25], v[10:11], v[10:11], v[4:5]
	v_rcp_f64_e32 v[20:21], v[6:7]
	v_mov_b32_e32 v26, 0x84b0a871
	v_mov_b32_e32 v27, 0x405ac260
	v_fmac_f64_e32 v[26:27], v[10:11], v[22:23]
	v_fma_f64 v[22:23], -v[6:7], v[20:21], 1.0
	v_fmac_f64_e32 v[20:21], v[20:21], v[22:23]
	v_fma_f64 v[22:23], -v[6:7], v[20:21], 1.0
	v_fmac_f64_e32 v[20:21], v[20:21], v[22:23]
	v_div_scale_f64 v[22:23], vcc, v[4:5], v[10:11], v[4:5]
	v_mul_f64 v[28:29], v[22:23], v[20:21]
	v_fma_f64 v[6:7], -v[6:7], v[28:29], v[22:23]
	s_mov_b32 s24, 0x577bf3db
	s_nop 0
	v_div_fmas_f64 v[6:7], v[6:7], v[20:21], v[28:29]
	v_div_fixup_f64 v[4:5], v[6:7], v[10:11], v[4:5]
	s_mov_b32 s25, 0xc111cb31
	v_add_f64 v[4:5], v[4:5], s[24:25]
	v_div_scale_f64 v[6:7], s[24:25], v[10:11], v[10:11], v[4:5]
	v_rcp_f64_e32 v[20:21], v[6:7]
	v_mov_b32_e32 v22, 0x57bb853e
	v_mov_b32_e32 v23, 0xc0a27d31
	v_fmac_f64_e32 v[22:23], v[10:11], v[26:27]
	v_fma_f64 v[26:27], -v[6:7], v[20:21], 1.0
	v_fmac_f64_e32 v[20:21], v[20:21], v[26:27]
	v_fma_f64 v[26:27], -v[6:7], v[20:21], 1.0
	v_fmac_f64_e32 v[20:21], v[20:21], v[26:27]
	v_div_scale_f64 v[26:27], vcc, v[4:5], v[10:11], v[4:5]
	v_mul_f64 v[28:29], v[26:27], v[20:21]
	v_fma_f64 v[6:7], -v[6:7], v[28:29], v[26:27]
	s_mov_b32 s25, 0xbffc8d48
	s_nop 0
	v_div_fmas_f64 v[6:7], v[6:7], v[20:21], v[28:29]
	s_mov_b32 s24, 0x44af141d
	v_div_fixup_f64 v[4:5], v[6:7], v[10:11], v[4:5]
	v_add_f64 v[6:7], v[10:11], s[24:25]
	s_mov_b32 s25, 0x3ffc8d48
	v_div_scale_f64 v[20:21], s[26:27], v[6:7], v[6:7], s[24:25]
	v_fmac_f64_e32 v[4:5], v[10:11], v[22:23]
	v_rcp_f64_e32 v[22:23], v[20:21]
	s_mov_b32 s26, 0x316d409b
	s_mov_b32 s27, 0x40e05e09
	v_add_f64 v[26:27], v[4:5], s[26:27]
	v_fma_f64 v[4:5], -v[20:21], v[22:23], 1.0
	v_fmac_f64_e32 v[22:23], v[22:23], v[4:5]
	v_fma_f64 v[4:5], -v[20:21], v[22:23], 1.0
	v_fmac_f64_e32 v[22:23], v[22:23], v[4:5]
	v_div_scale_f64 v[4:5], vcc, s[24:25], v[6:7], s[24:25]
	v_mul_f64 v[28:29], v[4:5], v[22:23]
	v_fma_f64 v[4:5], -v[20:21], v[28:29], v[4:5]
	v_mov_b32_e32 v20, 0x58db5abf
	s_nop 0
	v_div_fmas_f64 v[4:5], v[4:5], v[22:23], v[28:29]
	v_div_fixup_f64 v[4:5], v[4:5], v[6:7], s[24:25]
	s_mov_b32 s24, 0x1cf896df
	v_mov_b32_e32 v6, 0xb3b37cd8
	v_mov_b32_e32 v7, 0xbf9d644d
	s_mov_b32 s25, 0x3f186d95
	v_fmac_f64_e32 v[6:7], s[24:25], v[10:11]
	s_mov_b32 s24, 0x1313d2ce
	v_mov_b32_e32 v21, 0xbfe91276
	s_mov_b32 s25, 0xc1072c2c
	v_fmac_f64_e32 v[20:21], v[10:11], v[6:7]
	v_div_scale_f64 v[6:7], s[26:27], v[10:11], v[10:11], s[24:25]
	v_rcp_f64_e32 v[22:23], v[6:7]
	v_fmac_f64_e32 v[4:5], v[26:27], v[50:51]
	v_mov_b32_e32 v26, 0x6458880d
	v_mov_b32_e32 v27, 0xc0326f13
	v_fmac_f64_e32 v[26:27], v[10:11], v[20:21]
	v_fma_f64 v[20:21], -v[6:7], v[22:23], 1.0
	v_fmac_f64_e32 v[22:23], v[22:23], v[20:21]
	v_fma_f64 v[20:21], -v[6:7], v[22:23], 1.0
	v_fmac_f64_e32 v[22:23], v[22:23], v[20:21]
	v_div_scale_f64 v[20:21], vcc, s[24:25], v[10:11], s[24:25]
	v_mul_f64 v[28:29], v[20:21], v[22:23]
	v_fma_f64 v[6:7], -v[6:7], v[28:29], v[20:21]
	s_nop 1
	v_div_fmas_f64 v[6:7], v[6:7], v[22:23], v[28:29]
	v_div_fixup_f64 v[6:7], v[6:7], v[10:11], s[24:25]
	s_mov_b32 s24, 0xd9c89bfe
	s_mov_b32 s25, 0x40e8f9ba
	v_add_f64 v[6:7], v[6:7], s[24:25]
	v_div_scale_f64 v[20:21], s[24:25], v[10:11], v[10:11], v[6:7]
	v_rcp_f64_e32 v[22:23], v[20:21]
	v_mov_b32_e32 v28, 0x88f6d09a
	v_mov_b32_e32 v29, 0x40794ff2
	v_fmac_f64_e32 v[28:29], v[10:11], v[26:27]
	v_fma_f64 v[26:27], -v[20:21], v[22:23], 1.0
	v_fmac_f64_e32 v[22:23], v[22:23], v[26:27]
	v_fma_f64 v[26:27], -v[20:21], v[22:23], 1.0
	v_fmac_f64_e32 v[22:23], v[22:23], v[26:27]
	v_div_scale_f64 v[26:27], vcc, v[6:7], v[10:11], v[6:7]
	v_mul_f64 v[30:31], v[26:27], v[22:23]
	v_fma_f64 v[20:21], -v[20:21], v[30:31], v[26:27]
	s_mov_b32 s24, 0x4dc4ad02
	s_nop 0
	v_div_fmas_f64 v[20:21], v[20:21], v[22:23], v[30:31]
	v_div_fixup_f64 v[6:7], v[20:21], v[10:11], v[6:7]
	v_fmac_f64_e32 v[6:7], v[10:11], v[28:29]
	s_mov_b32 s25, 0xc0bae175
	v_add_f64 v[6:7], v[6:7], s[24:25]
.LBB0_119:
	s_or_b64 exec, exec, s[22:23]
	v_fma_f64 v[20:21], 2.0, v[48:49], v[48:49]
	v_add_f64 v[20:21], v[20:21], -v[50:51]
	v_div_scale_f64 v[22:23], s[22:23], v[52:53], v[52:53], v[20:21]
	v_rcp_f64_e32 v[26:27], v[22:23]
	v_div_scale_f64 v[28:29], vcc, v[20:21], v[52:53], v[20:21]
	s_mov_b32 s23, 0xc01619f3
	v_fma_f64 v[30:31], -v[22:23], v[26:27], 1.0
	v_fmac_f64_e32 v[26:27], v[26:27], v[30:31]
	v_fma_f64 v[30:31], -v[22:23], v[26:27], 1.0
	v_fmac_f64_e32 v[26:27], v[26:27], v[30:31]
	v_mul_f64 v[30:31], v[28:29], v[26:27]
	s_mov_b32 s22, 0xb5c0b740
	v_fma_f64 v[22:23], -v[22:23], v[30:31], v[28:29]
	v_add_f64 v[28:29], v[10:11], s[22:23]
	s_mov_b32 s23, 0x401619f3
	v_div_scale_f64 v[32:33], s[24:25], v[28:29], v[28:29], s[22:23]
	v_rcp_f64_e32 v[34:35], v[32:33]
	v_div_fmas_f64 v[10:11], v[22:23], v[26:27], v[30:31]
	v_div_fixup_f64 v[10:11], v[10:11], v[52:53], v[20:21]
	v_add_f64 v[30:31], v[0:1], 1.0
	v_fma_f64 v[20:21], -v[32:33], v[34:35], 1.0
	v_fmac_f64_e32 v[34:35], v[34:35], v[20:21]
	v_fma_f64 v[20:21], -v[32:33], v[34:35], 1.0
	v_fmac_f64_e32 v[34:35], v[34:35], v[20:21]
	v_div_scale_f64 v[20:21], vcc, s[22:23], v[28:29], s[22:23]
	v_mul_f64 v[22:23], v[20:21], v[34:35]
	v_fma_f64 v[20:21], -v[32:33], v[22:23], v[20:21]
	v_div_scale_f64 v[32:33], s[24:25], v[30:31], v[30:31], v[0:1]
	v_rcp_f64_e32 v[52:53], v[32:33]
	v_div_fmas_f64 v[20:21], v[20:21], v[34:35], v[22:23]
	v_div_fixup_f64 v[26:27], v[20:21], v[28:29], s[22:23]
	v_fmac_f64_e32 v[26:27], v[50:51], v[6:7]
	v_fma_f64 v[6:7], -v[32:33], v[52:53], 1.0
	v_fmac_f64_e32 v[52:53], v[52:53], v[6:7]
	v_fma_f64 v[6:7], -v[32:33], v[52:53], 1.0
	v_fmac_f64_e32 v[52:53], v[52:53], v[6:7]
	v_div_scale_f64 v[6:7], vcc, v[0:1], v[30:31], v[0:1]
	v_add_f64 v[22:23], v[4:5], 1.0
	v_mul_f64 v[20:21], v[6:7], v[52:53]
	v_div_scale_f64 v[28:29], s[22:23], v[22:23], v[22:23], v[4:5]
	v_fma_f64 v[6:7], -v[32:33], v[20:21], v[6:7]
	v_rcp_f64_e32 v[32:33], v[28:29]
	v_div_fmas_f64 v[6:7], v[6:7], v[52:53], v[20:21]
	v_div_fixup_f64 v[6:7], v[6:7], v[30:31], v[0:1]
	v_fma_f64 v[10:11], -v[48:49], v[6:7], v[10:11]
	v_fma_f64 v[20:21], -v[28:29], v[32:33], 1.0
	v_fmac_f64_e32 v[32:33], v[32:33], v[20:21]
	v_fma_f64 v[20:21], -v[28:29], v[32:33], 1.0
	v_fmac_f64_e32 v[32:33], v[32:33], v[20:21]
	v_div_scale_f64 v[20:21], vcc, v[4:5], v[22:23], v[4:5]
	v_mul_f64 v[30:31], v[20:21], v[32:33]
	v_fma_f64 v[20:21], -v[28:29], v[30:31], v[20:21]
	v_add_f64 v[28:29], v[26:27], 1.0
	v_div_scale_f64 v[34:35], s[22:23], v[28:29], v[28:29], v[26:27]
	v_rcp_f64_e32 v[50:51], v[34:35]
	v_div_fmas_f64 v[20:21], v[20:21], v[32:33], v[30:31]
	v_div_fixup_f64 v[20:21], v[20:21], v[22:23], v[4:5]
	v_fma_f64 v[22:23], -v[34:35], v[50:51], 1.0
	v_fmac_f64_e32 v[50:51], v[50:51], v[22:23]
	v_fma_f64 v[22:23], -v[34:35], v[50:51], 1.0
	v_fmac_f64_e32 v[50:51], v[50:51], v[22:23]
	v_div_scale_f64 v[22:23], vcc, v[26:27], v[28:29], v[26:27]
	v_mul_f64 v[30:31], v[22:23], v[50:51]
	v_fma_f64 v[22:23], -v[34:35], v[30:31], v[22:23]
	s_nop 1
	v_div_fmas_f64 v[22:23], v[22:23], v[50:51], v[30:31]
	v_div_fixup_f64 v[22:23], v[22:23], v[28:29], v[26:27]
	v_fma_f64 v[28:29], -v[2:3], v[6:7], v[48:49]
	v_add_f64 v[32:33], v[22:23], -v[20:21]
	v_add_f64 v[34:35], v[22:23], -v[6:7]
	v_fma_f64 v[30:31], -v[20:21], v[28:29], v[10:11]
	v_mul_f64 v[34:35], v[32:33], v[34:35]
	v_div_scale_f64 v[48:49], s[22:23], v[34:35], v[34:35], v[30:31]
	v_rcp_f64_e32 v[50:51], v[48:49]
	v_add_f64 v[6:7], v[20:21], -v[6:7]
	v_fma_f64 v[10:11], v[22:23], v[28:29], -v[10:11]
	v_mul_f64 v[20:21], v[6:7], v[32:33]
	v_fma_f64 v[52:53], -v[48:49], v[50:51], 1.0
	v_fmac_f64_e32 v[50:51], v[50:51], v[52:53]
	v_fma_f64 v[52:53], -v[48:49], v[50:51], 1.0
	v_div_scale_f64 v[22:23], s[22:23], v[20:21], v[20:21], v[10:11]
	v_fmac_f64_e32 v[50:51], v[50:51], v[52:53]
	v_div_scale_f64 v[52:53], vcc, v[30:31], v[34:35], v[30:31]
	v_rcp_f64_e32 v[28:29], v[22:23]
	v_mul_f64 v[54:55], v[52:53], v[50:51]
	v_fma_f64 v[48:49], -v[48:49], v[54:55], v[52:53]
	s_nop 0
	v_div_fmas_f64 v[6:7], v[48:49], v[50:51], v[54:55]
	v_div_fixup_f64 v[6:7], v[6:7], v[34:35], v[30:31]
	v_fma_f64 v[30:31], -v[22:23], v[28:29], 1.0
	v_fmac_f64_e32 v[28:29], v[28:29], v[30:31]
	v_fma_f64 v[30:31], -v[22:23], v[28:29], 1.0
	v_fmac_f64_e32 v[28:29], v[28:29], v[30:31]
	v_div_scale_f64 v[30:31], vcc, v[10:11], v[20:21], v[10:11]
	v_mul_f64 v[32:33], v[30:31], v[28:29]
	v_fma_f64 v[22:23], -v[22:23], v[32:33], v[30:31]
	s_nop 1
	v_div_fmas_f64 v[22:23], v[22:23], v[28:29], v[32:33]
	v_div_fixup_f64 v[30:31], v[22:23], v[20:21], v[10:11]
	v_add_f64 v[2:3], v[2:3], -v[30:31]
	v_add_f64 v[2:3], v[2:3], -v[6:7]
.LBB0_120:
	s_or_b64 exec, exec, s[20:21]
                                        ; implicit-def: $vgpr10_vgpr11
                                        ; implicit-def: $vgpr50_vgpr51
                                        ; implicit-def: $vgpr48_vgpr49
.LBB0_121:
	s_andn2_saveexec_b64 s[18:19], s[18:19]
	s_cbranch_execz .LBB0_123
; %bb.122:
	s_mov_b32 s20, 0x2e1a6850
	v_mov_b32_e32 v0, 0xc7014c2f
	v_mov_b32_e32 v1, 0x3f2711b1
	s_mov_b32 s21, 0xbeb34731
	v_fmac_f64_e32 v[0:1], s[20:21], v[10:11]
	s_mov_b32 s20, 0x98a19a3b
	s_mov_b32 s21, 0xc047c97f
	v_div_scale_f64 v[4:5], s[22:23], v[10:11], v[10:11], s[20:21]
	v_rcp_f64_e32 v[6:7], v[4:5]
	v_mov_b32_e32 v20, 0x3ecbb5b5
	v_mov_b32_e32 v21, 0xbf919c75
	v_fmac_f64_e32 v[20:21], v[10:11], v[0:1]
	v_fma_f64 v[0:1], -v[4:5], v[6:7], 1.0
	v_fmac_f64_e32 v[6:7], v[6:7], v[0:1]
	v_fma_f64 v[0:1], -v[4:5], v[6:7], 1.0
	v_fmac_f64_e32 v[6:7], v[6:7], v[0:1]
	v_div_scale_f64 v[0:1], vcc, s[20:21], v[10:11], s[20:21]
	v_mul_f64 v[22:23], v[0:1], v[6:7]
	v_fma_f64 v[0:1], -v[4:5], v[22:23], v[0:1]
	s_nop 1
	v_div_fmas_f64 v[0:1], v[0:1], v[6:7], v[22:23]
	v_div_fixup_f64 v[0:1], v[0:1], v[10:11], s[20:21]
	s_mov_b32 s20, 0xeb08f581
	s_mov_b32 s21, 0x40226b8b
	v_add_f64 v[0:1], v[0:1], s[20:21]
	v_div_scale_f64 v[4:5], s[20:21], v[10:11], v[10:11], v[0:1]
	v_rcp_f64_e32 v[6:7], v[4:5]
	v_mov_b32_e32 v22, 0x2c4d6e04
	v_mov_b32_e32 v23, 0xbfc192ce
	v_fmac_f64_e32 v[22:23], v[10:11], v[20:21]
	v_fma_f64 v[20:21], -v[4:5], v[6:7], 1.0
	v_fmac_f64_e32 v[6:7], v[6:7], v[20:21]
	v_fma_f64 v[20:21], -v[4:5], v[6:7], 1.0
	v_fmac_f64_e32 v[6:7], v[6:7], v[20:21]
	v_div_scale_f64 v[20:21], vcc, v[0:1], v[10:11], v[0:1]
	v_mul_f64 v[26:27], v[20:21], v[6:7]
	v_fma_f64 v[4:5], -v[4:5], v[26:27], v[20:21]
	s_mov_b32 s21, 0xbfd19dc7
	s_nop 0
	v_div_fmas_f64 v[4:5], v[4:5], v[6:7], v[26:27]
	s_mov_b32 s20, 0xafdb7b47
	v_div_fixup_f64 v[0:1], v[4:5], v[10:11], v[0:1]
	v_add_f64 v[4:5], v[10:11], s[20:21]
	s_mov_b32 s21, 0x3fd19dc7
	v_div_scale_f64 v[6:7], s[22:23], v[4:5], v[4:5], s[20:21]
	v_rcp_f64_e32 v[20:21], v[6:7]
	s_mov_b32 s22, 0x7e7368c2
	v_fmac_f64_e32 v[0:1], v[10:11], v[22:23]
	s_mov_b32 s23, 0xbf97a9a5
	v_add_f64 v[22:23], v[0:1], s[22:23]
	v_fma_f64 v[0:1], -v[6:7], v[20:21], 1.0
	v_fmac_f64_e32 v[20:21], v[20:21], v[0:1]
	v_fma_f64 v[0:1], -v[6:7], v[20:21], 1.0
	v_fmac_f64_e32 v[20:21], v[20:21], v[0:1]
	v_div_scale_f64 v[0:1], vcc, s[20:21], v[4:5], s[20:21]
	v_mul_f64 v[26:27], v[0:1], v[20:21]
	v_fma_f64 v[0:1], -v[6:7], v[26:27], v[0:1]
	s_nop 1
	v_div_fmas_f64 v[0:1], v[0:1], v[20:21], v[26:27]
	v_div_fixup_f64 v[0:1], v[0:1], v[4:5], s[20:21]
	s_mov_b32 s20, 0x91cc54ee
	s_mov_b32 s21, 0xc060fa97
	v_div_scale_f64 v[6:7], s[22:23], v[10:11], v[10:11], s[20:21]
	v_rcp_f64_e32 v[20:21], v[6:7]
	v_fmac_f64_e32 v[0:1], v[22:23], v[50:51]
	s_mov_b32 s22, 0x7b27a661
	v_mov_b32_e32 v4, 0x5eeb529d
	v_fma_f64 v[22:23], -v[6:7], v[20:21], 1.0
	v_fmac_f64_e32 v[20:21], v[20:21], v[22:23]
	v_fma_f64 v[22:23], -v[6:7], v[20:21], 1.0
	v_fmac_f64_e32 v[20:21], v[20:21], v[22:23]
	v_div_scale_f64 v[22:23], vcc, s[20:21], v[10:11], s[20:21]
	v_mul_f64 v[26:27], v[22:23], v[20:21]
	v_fma_f64 v[6:7], -v[6:7], v[26:27], v[22:23]
	v_mov_b32_e32 v5, 0xbfb8e11f
	s_nop 0
	v_div_fmas_f64 v[6:7], v[6:7], v[20:21], v[26:27]
	v_div_fixup_f64 v[6:7], v[6:7], v[10:11], s[20:21]
	s_mov_b32 s20, 0x66acbf03
	s_mov_b32 s21, 0xc055ac1b
	v_add_f64 v[6:7], v[6:7], s[20:21]
	v_div_scale_f64 v[20:21], s[20:21], v[10:11], v[10:11], v[6:7]
	v_rcp_f64_e32 v[22:23], v[20:21]
	s_mov_b32 s23, 0x3f37ea5e
	v_fmac_f64_e32 v[4:5], s[22:23], v[10:11]
	v_mov_b32_e32 v26, 0xef27b1df
	v_mov_b32_e32 v27, 0xc0101d8d
	v_fmac_f64_e32 v[26:27], v[10:11], v[4:5]
	v_fma_f64 v[4:5], -v[20:21], v[22:23], 1.0
	v_fmac_f64_e32 v[22:23], v[22:23], v[4:5]
	v_fma_f64 v[4:5], -v[20:21], v[22:23], 1.0
	v_fmac_f64_e32 v[22:23], v[22:23], v[4:5]
	v_div_scale_f64 v[4:5], vcc, v[6:7], v[10:11], v[6:7]
	v_mul_f64 v[28:29], v[4:5], v[22:23]
	v_fma_f64 v[4:5], -v[20:21], v[28:29], v[4:5]
	s_mov_b32 s21, 0xc005cc47
	s_nop 0
	v_div_fmas_f64 v[4:5], v[4:5], v[22:23], v[28:29]
	s_mov_b32 s20, 0xa049083
	v_div_fixup_f64 v[4:5], v[4:5], v[10:11], v[6:7]
	v_add_f64 v[6:7], v[10:11], s[20:21]
	s_mov_b32 s21, 0x4005cc47
	v_fmac_f64_e32 v[4:5], v[10:11], v[26:27]
	v_div_scale_f64 v[10:11], s[22:23], v[6:7], v[6:7], s[20:21]
	v_rcp_f64_e32 v[20:21], v[10:11]
	s_mov_b32 s22, 0x5e33dc4b
	s_mov_b32 s23, 0x4007d745
	v_add_f64 v[22:23], v[4:5], s[22:23]
	v_fma_f64 v[4:5], -v[10:11], v[20:21], 1.0
	v_fmac_f64_e32 v[20:21], v[20:21], v[4:5]
	v_fma_f64 v[4:5], -v[10:11], v[20:21], 1.0
	v_fmac_f64_e32 v[20:21], v[20:21], v[4:5]
	v_div_scale_f64 v[4:5], vcc, s[20:21], v[6:7], s[20:21]
	v_mul_f64 v[26:27], v[4:5], v[20:21]
	v_fma_f64 v[4:5], -v[10:11], v[26:27], v[4:5]
	s_nop 1
	v_div_fmas_f64 v[4:5], v[4:5], v[20:21], v[26:27]
	v_div_fixup_f64 v[4:5], v[4:5], v[6:7], s[20:21]
	v_fmac_f64_e32 v[4:5], v[22:23], v[50:51]
	v_add_f64 v[6:7], v[48:49], -v[2:3]
	v_fmac_f64_e32 v[48:49], v[0:1], v[6:7]
	v_add_f64 v[6:7], v[4:5], 1.0
	v_mul_f64 v[6:7], v[6:7], v[48:49]
	v_add_f64 v[10:11], v[4:5], -v[0:1]
	v_div_scale_f64 v[20:21], s[20:21], v[10:11], v[10:11], v[6:7]
	v_rcp_f64_e32 v[22:23], v[20:21]
	s_nop 0
	v_fma_f64 v[26:27], -v[20:21], v[22:23], 1.0
	v_fmac_f64_e32 v[22:23], v[22:23], v[26:27]
	v_fma_f64 v[26:27], -v[20:21], v[22:23], 1.0
	v_fmac_f64_e32 v[22:23], v[22:23], v[26:27]
	v_div_scale_f64 v[26:27], vcc, v[6:7], v[10:11], v[6:7]
	v_mul_f64 v[28:29], v[26:27], v[22:23]
	v_fma_f64 v[20:21], -v[20:21], v[28:29], v[26:27]
	v_mov_b64_e32 v[26:27], 0
	s_nop 0
	v_div_fmas_f64 v[20:21], v[20:21], v[22:23], v[28:29]
	v_div_fixup_f64 v[30:31], v[20:21], v[10:11], v[6:7]
	v_add_f64 v[2:3], v[2:3], -v[30:31]
	v_mov_b64_e32 v[6:7], 0
.LBB0_123:
	s_or_b64 exec, exec, s[18:19]
                                        ; implicit-def: $vgpr48_vgpr49
.LBB0_124:
	s_andn2_saveexec_b64 s[16:17], s[16:17]
	s_cbranch_execz .LBB0_128
; %bb.125:
	scratch_load_dword v0, off, s33 offset:932 ; 4-byte Folded Reload
	v_mov_b64_e32 v[6:7], 0
	s_waitcnt vmcnt(0)
	v_cmp_eq_u32_e32 vcc, 0, v0
	v_mov_b64_e32 v[0:1], 0
	s_and_saveexec_b64 s[18:19], vcc
	s_cbranch_execz .LBB0_127
; %bb.126:
	v_add_f64 v[0:1], v[2:3], -v[48:49]
	v_div_scale_f64 v[4:5], s[20:21], v[0:1], v[0:1], v[48:49]
	v_rcp_f64_e32 v[10:11], v[4:5]
	v_div_scale_f64 v[20:21], vcc, v[48:49], v[0:1], v[48:49]
	v_fma_f64 v[22:23], -v[4:5], v[10:11], 1.0
	v_fmac_f64_e32 v[10:11], v[10:11], v[22:23]
	v_fma_f64 v[22:23], -v[4:5], v[10:11], 1.0
	v_fmac_f64_e32 v[10:11], v[10:11], v[22:23]
	v_mul_f64 v[22:23], v[20:21], v[10:11]
	v_fma_f64 v[4:5], -v[4:5], v[22:23], v[20:21]
	v_div_fmas_f64 v[4:5], v[4:5], v[10:11], v[22:23]
	v_div_fixup_f64 v[0:1], v[4:5], v[0:1], v[48:49]
.LBB0_127:
	s_or_b64 exec, exec, s[18:19]
	v_mov_b64_e32 v[30:31], 0
	v_mov_b64_e32 v[26:27], 0
	;; [unrolled: 1-line block ×3, first 2 shown]
.LBB0_128:
	s_or_b64 exec, exec, s[16:17]
.LBB0_129:
	s_or_b64 exec, exec, s[14:15]
                                        ; implicit-def: $vgpr10_vgpr11
.LBB0_130:
	s_andn2_saveexec_b64 s[12:13], s[12:13]
	s_cbranch_execz .LBB0_144
; %bb.131:
	s_mov_b32 s14, 0x652b82fe
	s_mov_b32 s15, 0xbff71547
	v_mul_f64 v[0:1], v[10:11], s[14:15]
	s_mov_b32 s14, 0xfefa39ef
	v_rndne_f64_e32 v[0:1], v[0:1]
	s_mov_b32 s15, 0xbfe62e42
	v_fma_f64 v[2:3], v[0:1], s[14:15], -v[10:11]
	s_mov_b32 s14, 0x3b39803f
	s_mov_b32 s15, 0xbc7abc9e
	v_fmac_f64_e32 v[2:3], s[14:15], v[0:1]
	s_mov_b32 s14, 0x6a5dcb37
	v_mov_b32_e32 v4, 0xfca7ab0c
	v_mov_b32_e32 v5, 0x3e928af3
	s_mov_b32 s15, 0x3e5ade15
	v_fmac_f64_e32 v[4:5], s[14:15], v[2:3]
	s_mov_b32 s14, 0xb621ca13
	s_mov_b32 s15, 0xbfc80b5d
	v_div_scale_f64 v[20:21], s[16:17], v[10:11], v[10:11], s[14:15]
	v_rcp_f64_e32 v[22:23], v[20:21]
	v_mov_b32_e32 v6, 0x623fde64
	v_mov_b32_e32 v7, 0x3ec71dee
	v_fmac_f64_e32 v[6:7], v[2:3], v[4:5]
	v_fma_f64 v[26:27], -v[20:21], v[22:23], 1.0
	v_fmac_f64_e32 v[22:23], v[22:23], v[26:27]
	v_fma_f64 v[26:27], -v[20:21], v[22:23], 1.0
	v_fmac_f64_e32 v[22:23], v[22:23], v[26:27]
	v_div_scale_f64 v[26:27], vcc, s[14:15], v[10:11], s[14:15]
	v_mul_f64 v[28:29], v[26:27], v[22:23]
	v_fma_f64 v[20:21], -v[20:21], v[28:29], v[26:27]
	v_mov_b32_e32 v4, 0x7c89e6b0
	s_nop 0
	v_div_fmas_f64 v[20:21], v[20:21], v[22:23], v[28:29]
	v_div_fixup_f64 v[20:21], v[20:21], v[10:11], s[14:15]
	s_mov_b32 s14, 0x1930dd58
	v_mov_b32_e32 v5, 0x3efa0199
	s_mov_b32 s15, 0x3fcd6df8
	v_fmac_f64_e32 v[4:5], v[2:3], v[6:7]
	v_mov_b32_e32 v6, 0x14761f6e
	v_mov_b32_e32 v7, 0x3f2a01a0
	v_add_f64 v[20:21], v[20:21], s[14:15]
	v_fmac_f64_e32 v[6:7], v[2:3], v[4:5]
	v_mov_b32_e32 v4, 0x1852b7b0
	v_mov_b32_e32 v5, 0x3f56c16c
	v_div_scale_f64 v[22:23], s[14:15], v[10:11], v[10:11], v[20:21]
	v_fmac_f64_e32 v[4:5], v[2:3], v[6:7]
	v_mov_b32_e32 v6, 0x11122322
	v_mov_b32_e32 v7, 0x3f811111
	v_rcp_f64_e32 v[26:27], v[22:23]
	v_fmac_f64_e32 v[6:7], v[2:3], v[4:5]
	v_mov_b32_e32 v4, 0x555502a1
	v_mov_b32_e32 v5, 0x3fa55555
	v_fmac_f64_e32 v[4:5], v[2:3], v[6:7]
	v_mov_b32_e32 v6, 0x55555511
	v_mov_b32_e32 v7, 0x3fc55555
	;; [unrolled: 3-line block ×3, first 2 shown]
	v_fmac_f64_e32 v[4:5], v[2:3], v[6:7]
	v_fma_f64 v[6:7], -v[22:23], v[26:27], 1.0
	v_fmac_f64_e32 v[26:27], v[26:27], v[6:7]
	v_fma_f64 v[6:7], -v[22:23], v[26:27], 1.0
	v_fmac_f64_e32 v[26:27], v[26:27], v[6:7]
	v_div_scale_f64 v[6:7], vcc, v[20:21], v[10:11], v[20:21]
	v_mul_f64 v[28:29], v[6:7], v[26:27]
	v_fma_f64 v[6:7], -v[22:23], v[28:29], v[6:7]
	s_mov_b32 s14, 0xa84e6e89
	s_nop 0
	v_div_fmas_f64 v[6:7], v[6:7], v[26:27], v[28:29]
	v_div_fixup_f64 v[6:7], v[6:7], v[10:11], v[20:21]
	s_mov_b32 s15, 0xbfdfee97
	v_add_f64 v[6:7], v[6:7], s[14:15]
	v_div_scale_f64 v[20:21], s[14:15], v[10:11], v[10:11], v[6:7]
	v_rcp_f64_e32 v[22:23], v[20:21]
	v_fma_f64 v[4:5], v[2:3], v[4:5], 1.0
	v_fma_f64 v[2:3], v[2:3], v[4:5], 1.0
	v_cvt_i32_f64_e32 v0, v[0:1]
	v_ldexp_f64 v[50:51], v[2:3], v0
	v_fma_f64 v[0:1], -v[20:21], v[22:23], 1.0
	v_fmac_f64_e32 v[22:23], v[22:23], v[0:1]
	v_fma_f64 v[0:1], -v[20:21], v[22:23], 1.0
	s_mov_b32 s14, 0x54442d15
	v_fmac_f64_e32 v[22:23], v[22:23], v[0:1]
	v_div_scale_f64 v[0:1], vcc, v[6:7], v[10:11], v[6:7]
	s_mov_b32 s15, 0x3fe921fb
	v_mul_f64 v[2:3], v[0:1], v[22:23]
	v_div_scale_f64 v[4:5], s[16:17], v[10:11], v[10:11], s[14:15]
	v_fma_f64 v[0:1], -v[20:21], v[2:3], v[0:1]
	v_rcp_f64_e32 v[20:21], v[4:5]
	v_div_fmas_f64 v[0:1], v[0:1], v[22:23], v[2:3]
	v_div_fixup_f64 v[0:1], v[0:1], v[10:11], v[6:7]
	v_add_f64 v[52:53], v[10:11], v[10:11]
	v_fma_f64 v[2:3], -v[4:5], v[20:21], 1.0
	v_fmac_f64_e32 v[20:21], v[20:21], v[2:3]
	v_fma_f64 v[2:3], -v[4:5], v[20:21], 1.0
	v_fmac_f64_e32 v[20:21], v[20:21], v[2:3]
	v_div_scale_f64 v[2:3], vcc, s[14:15], v[10:11], s[14:15]
	v_mul_f64 v[6:7], v[2:3], v[20:21]
	v_fma_f64 v[2:3], -v[4:5], v[6:7], v[2:3]
	v_mov_b32_e32 v4, 0x100
	s_nop 0
	v_div_fmas_f64 v[2:3], v[2:3], v[20:21], v[6:7]
	v_div_fixup_f64 v[2:3], v[2:3], v[10:11], s[14:15]
	s_mov_b32 s14, 0
	s_brev_b32 s15, 8
	v_cmp_gt_f64_e32 vcc, s[14:15], v[2:3]
	s_mov_b32 s14, 0x3edd2a8f
	s_mov_b32 s15, 0xbef6fb2b
	v_cndmask_b32_e32 v4, 0, v4, vcc
	v_ldexp_f64 v[2:3], v[2:3], v4
	v_rsq_f64_e32 v[4:5], v[2:3]
	v_add_f64 v[0:1], v[0:1], s[14:15]
                                        ; implicit-def: $vgpr30_vgpr31
                                        ; implicit-def: $vgpr26_vgpr27
	v_mul_f64 v[6:7], v[2:3], v[4:5]
	v_mul_f64 v[4:5], v[4:5], 0.5
	v_fma_f64 v[20:21], -v[4:5], v[6:7], 0.5
	v_fmac_f64_e32 v[6:7], v[6:7], v[20:21]
	v_fma_f64 v[22:23], -v[6:7], v[6:7], v[2:3]
	v_fmac_f64_e32 v[4:5], v[4:5], v[20:21]
	v_fmac_f64_e32 v[6:7], v[22:23], v[4:5]
	v_fma_f64 v[20:21], -v[6:7], v[6:7], v[2:3]
	v_fmac_f64_e32 v[6:7], v[20:21], v[4:5]
	v_mov_b32_e32 v4, 0xffffff80
	v_cndmask_b32_e32 v4, 0, v4, vcc
	v_ldexp_f64 v[4:5], v[6:7], v4
	v_mov_b32_e32 v6, 0x260
	v_cmp_class_f64_e32 vcc, v[2:3], v6
	s_nop 1
	v_cndmask_b32_e32 v3, v5, v3, vcc
	v_cndmask_b32_e32 v2, v4, v2, vcc
	v_fmac_f64_e32 v[2:3], v[0:1], v[50:51]
	v_add_f64 v[0:1], v[2:3], -v[50:51]
	v_div_scale_f64 v[4:5], s[14:15], v[52:53], v[52:53], v[0:1]
	v_rcp_f64_e32 v[6:7], v[4:5]
	s_nop 0
	v_fma_f64 v[20:21], -v[4:5], v[6:7], 1.0
	v_fmac_f64_e32 v[6:7], v[6:7], v[20:21]
	v_fma_f64 v[20:21], -v[4:5], v[6:7], 1.0
	v_fmac_f64_e32 v[6:7], v[6:7], v[20:21]
	v_div_scale_f64 v[20:21], vcc, v[0:1], v[52:53], v[0:1]
	v_mul_f64 v[22:23], v[20:21], v[6:7]
	v_fma_f64 v[4:5], -v[4:5], v[22:23], v[20:21]
	s_nop 1
	v_div_fmas_f64 v[4:5], v[4:5], v[6:7], v[22:23]
	v_div_fixup_f64 v[48:49], v[4:5], v[52:53], v[0:1]
	scratch_load_dword v0, off, s33 offset:932 ; 4-byte Folded Reload
                                        ; implicit-def: $vgpr6_vgpr7
                                        ; implicit-def: $vgpr4_vgpr5
	s_waitcnt vmcnt(0)
	v_cmp_lt_i32_e32 vcc, 0, v0
                                        ; implicit-def: $vgpr0_vgpr1
	s_and_saveexec_b64 s[14:15], vcc
	s_xor_b64 s[14:15], exec, s[14:15]
	s_cbranch_execz .LBB0_139
; %bb.132:
	scratch_load_dword v0, off, s33 offset:932 ; 4-byte Folded Reload
                                        ; implicit-def: $vgpr6_vgpr7
                                        ; implicit-def: $vgpr30_vgpr31
                                        ; implicit-def: $vgpr26_vgpr27
                                        ; implicit-def: $vgpr4_vgpr5
	s_waitcnt vmcnt(0)
	v_cmp_lt_i32_e32 vcc, 1, v0
                                        ; implicit-def: $vgpr0_vgpr1
	s_and_saveexec_b64 s[16:17], vcc
	s_xor_b64 s[16:17], exec, s[16:17]
	s_cbranch_execz .LBB0_136
; %bb.133:
	scratch_load_dword v0, off, s33 offset:932 ; 4-byte Folded Reload
	v_mov_b64_e32 v[6:7], 0
	v_mov_b64_e32 v[30:31], 0
	;; [unrolled: 1-line block ×4, first 2 shown]
	s_waitcnt vmcnt(0)
	v_cmp_eq_u32_e32 vcc, 2, v0
	v_mov_b64_e32 v[0:1], 0
	s_and_saveexec_b64 s[18:19], vcc
	s_cbranch_execz .LBB0_135
; %bb.134:
	v_fma_f64 v[0:1], 2.0, v[48:49], v[48:49]
	v_add_f64 v[0:1], v[0:1], -v[50:51]
	v_div_scale_f64 v[4:5], s[20:21], v[52:53], v[52:53], v[0:1]
	v_rcp_f64_e32 v[6:7], v[4:5]
	v_div_scale_f64 v[20:21], vcc, v[0:1], v[52:53], v[0:1]
	s_mov_b32 s20, 0
	v_fma_f64 v[22:23], -v[4:5], v[6:7], 1.0
	v_fmac_f64_e32 v[6:7], v[6:7], v[22:23]
	v_fma_f64 v[22:23], -v[4:5], v[6:7], 1.0
	v_fmac_f64_e32 v[6:7], v[6:7], v[22:23]
	v_mul_f64 v[22:23], v[20:21], v[6:7]
	v_fma_f64 v[4:5], -v[4:5], v[22:23], v[20:21]
	s_mov_b32 s21, 0xc0290000
	v_div_fmas_f64 v[4:5], v[4:5], v[6:7], v[22:23]
	v_add_f64 v[10:11], v[10:11], s[20:21]
	s_mov_b32 s20, 0x10f47019
	v_div_fixup_f64 v[6:7], v[4:5], v[52:53], v[0:1]
	v_mov_b32_e32 v0, 0x94ee36f9
	v_mov_b32_e32 v1, 0xbce8f78f
	s_mov_b32 s21, 0x3cbfdbea
	v_fmac_f64_e32 v[0:1], s[20:21], v[10:11]
	v_mov_b32_e32 v4, 0xae4086c1
	v_mov_b32_e32 v5, 0xbd26fdb3
	v_fmac_f64_e32 v[4:5], v[10:11], v[0:1]
	v_mov_b32_e32 v0, 0xcbe87f6
	v_mov_b32_e32 v1, 0x3d62edc5
	;; [unrolled: 3-line block ×10, first 2 shown]
	s_mov_b32 s20, 0x41bbab7c
	v_fmac_f64_e32 v[20:21], v[10:11], v[4:5]
	v_mov_b32_e32 v0, 0x746c625f
	v_mov_b32_e32 v1, 0x3f8f6c71
	;; [unrolled: 1-line block ×4, first 2 shown]
	s_mov_b32 s21, 0x3cfedb34
	v_fmac_f64_e32 v[0:1], v[10:11], v[20:21]
	v_fmac_f64_e32 v[4:5], s[20:21], v[10:11]
	v_mov_b32_e32 v20, 0xfc8f075b
	v_mov_b32_e32 v21, 0xbd6e2f6c
	v_fmac_f64_e32 v[20:21], v[10:11], v[4:5]
	v_mov_b32_e32 v4, 0x941ba9c7
	v_mov_b32_e32 v5, 0x3d9d36bc
	;; [unrolled: 3-line block ×10, first 2 shown]
	s_mov_b32 s20, 0x870dd484
	v_fmac_f64_e32 v[22:23], v[10:11], v[20:21]
	v_mov_b32_e32 v4, 0x9a7ad92a
	v_mov_b32_e32 v5, 0x3fc52145
	;; [unrolled: 1-line block ×4, first 2 shown]
	s_mov_b32 s21, 0x3cece10c
	v_fmac_f64_e32 v[4:5], v[10:11], v[22:23]
	v_fmac_f64_e32 v[20:21], s[20:21], v[10:11]
	v_mov_b32_e32 v22, 0x3978e7de
	v_mov_b32_e32 v23, 0xbd563763
	v_fmac_f64_e32 v[22:23], v[10:11], v[20:21]
	v_mov_b32_e32 v20, 0x7793c71a
	v_mov_b32_e32 v21, 0x3da307d7
	;; [unrolled: 3-line block ×11, first 2 shown]
	v_fmac_f64_e32 v[22:23], v[10:11], v[20:21]
	v_add_f64 v[20:21], v[0:1], 1.0
	v_div_scale_f64 v[28:29], s[20:21], v[20:21], v[20:21], v[0:1]
	v_rcp_f64_e32 v[30:31], v[28:29]
	v_mov_b32_e32 v26, 0xcaa59aba
	v_mov_b32_e32 v27, 0x3fe8deda
	v_fmac_f64_e32 v[26:27], v[10:11], v[22:23]
	v_fma_f64 v[10:11], -v[28:29], v[30:31], 1.0
	v_fmac_f64_e32 v[30:31], v[30:31], v[10:11]
	v_fma_f64 v[10:11], -v[28:29], v[30:31], 1.0
	v_fmac_f64_e32 v[30:31], v[30:31], v[10:11]
	v_div_scale_f64 v[10:11], vcc, v[0:1], v[20:21], v[0:1]
	v_mul_f64 v[22:23], v[10:11], v[30:31]
	v_fma_f64 v[10:11], -v[28:29], v[22:23], v[10:11]
	v_add_f64 v[28:29], v[4:5], 1.0
	v_div_scale_f64 v[32:33], s[20:21], v[28:29], v[28:29], v[4:5]
	v_rcp_f64_e32 v[34:35], v[32:33]
	v_div_fmas_f64 v[10:11], v[10:11], v[30:31], v[22:23]
	v_div_fixup_f64 v[10:11], v[10:11], v[20:21], v[0:1]
	v_add_f64 v[30:31], v[26:27], 1.0
	v_fma_f64 v[20:21], -v[32:33], v[34:35], 1.0
	v_fmac_f64_e32 v[34:35], v[34:35], v[20:21]
	v_fma_f64 v[20:21], -v[32:33], v[34:35], 1.0
	v_fmac_f64_e32 v[34:35], v[34:35], v[20:21]
	v_div_scale_f64 v[20:21], vcc, v[4:5], v[28:29], v[4:5]
	v_mul_f64 v[22:23], v[20:21], v[34:35]
	v_fma_f64 v[20:21], -v[32:33], v[22:23], v[20:21]
	v_div_scale_f64 v[32:33], s[20:21], v[30:31], v[30:31], v[26:27]
	v_rcp_f64_e32 v[50:51], v[32:33]
	v_div_fmas_f64 v[20:21], v[20:21], v[34:35], v[22:23]
	v_div_fixup_f64 v[20:21], v[20:21], v[28:29], v[4:5]
	v_fma_f64 v[6:7], -v[48:49], v[10:11], v[6:7]
	v_fma_f64 v[22:23], -v[32:33], v[50:51], 1.0
	v_fmac_f64_e32 v[50:51], v[50:51], v[22:23]
	v_fma_f64 v[22:23], -v[32:33], v[50:51], 1.0
	v_fmac_f64_e32 v[50:51], v[50:51], v[22:23]
	v_div_scale_f64 v[22:23], vcc, v[26:27], v[30:31], v[26:27]
	v_mul_f64 v[28:29], v[22:23], v[50:51]
	v_fma_f64 v[22:23], -v[32:33], v[28:29], v[22:23]
	s_nop 1
	v_div_fmas_f64 v[22:23], v[22:23], v[50:51], v[28:29]
	v_div_fixup_f64 v[22:23], v[22:23], v[30:31], v[26:27]
	v_fma_f64 v[28:29], -v[2:3], v[10:11], v[48:49]
	v_add_f64 v[32:33], v[22:23], -v[20:21]
	v_add_f64 v[34:35], v[22:23], -v[10:11]
	v_fma_f64 v[30:31], -v[20:21], v[28:29], v[6:7]
	v_mul_f64 v[34:35], v[32:33], v[34:35]
	v_div_scale_f64 v[48:49], s[20:21], v[34:35], v[34:35], v[30:31]
	v_rcp_f64_e32 v[50:51], v[48:49]
	v_fma_f64 v[22:23], v[22:23], v[28:29], -v[6:7]
	v_add_f64 v[6:7], v[20:21], -v[10:11]
	v_mul_f64 v[10:11], v[6:7], v[32:33]
	v_fma_f64 v[52:53], -v[48:49], v[50:51], 1.0
	v_fmac_f64_e32 v[50:51], v[50:51], v[52:53]
	v_fma_f64 v[52:53], -v[48:49], v[50:51], 1.0
	v_div_scale_f64 v[20:21], s[20:21], v[10:11], v[10:11], v[22:23]
	v_fmac_f64_e32 v[50:51], v[50:51], v[52:53]
	v_div_scale_f64 v[52:53], vcc, v[30:31], v[34:35], v[30:31]
	v_rcp_f64_e32 v[28:29], v[20:21]
	v_mul_f64 v[54:55], v[52:53], v[50:51]
	v_fma_f64 v[48:49], -v[48:49], v[54:55], v[52:53]
	s_nop 0
	v_div_fmas_f64 v[6:7], v[48:49], v[50:51], v[54:55]
	v_div_fixup_f64 v[6:7], v[6:7], v[34:35], v[30:31]
	v_fma_f64 v[30:31], -v[20:21], v[28:29], 1.0
	v_fmac_f64_e32 v[28:29], v[28:29], v[30:31]
	v_fma_f64 v[30:31], -v[20:21], v[28:29], 1.0
	v_fmac_f64_e32 v[28:29], v[28:29], v[30:31]
	v_div_scale_f64 v[30:31], vcc, v[22:23], v[10:11], v[22:23]
	v_mul_f64 v[32:33], v[30:31], v[28:29]
	v_fma_f64 v[20:21], -v[20:21], v[32:33], v[30:31]
	s_nop 1
	v_div_fmas_f64 v[20:21], v[20:21], v[28:29], v[32:33]
	v_div_fixup_f64 v[30:31], v[20:21], v[10:11], v[22:23]
	v_add_f64 v[2:3], v[2:3], -v[30:31]
	v_add_f64 v[2:3], v[2:3], -v[6:7]
.LBB0_135:
	s_or_b64 exec, exec, s[18:19]
                                        ; implicit-def: $vgpr10_vgpr11
                                        ; implicit-def: $vgpr50_vgpr51
                                        ; implicit-def: $vgpr48_vgpr49
.LBB0_136:
	s_andn2_saveexec_b64 s[16:17], s[16:17]
	s_cbranch_execz .LBB0_138
; %bb.137:
	s_mov_b32 s18, 0xfb97540
	s_mov_b32 s19, 0xc0c0c00c
	v_div_scale_f64 v[0:1], s[20:21], v[10:11], v[10:11], s[18:19]
	v_rcp_f64_e32 v[4:5], v[0:1]
	v_mov_b32_e32 v6, 0x864df747
	v_mov_b32_e32 v7, 0x3f53937b
	v_fma_f64 v[20:21], -v[0:1], v[4:5], 1.0
	v_fmac_f64_e32 v[4:5], v[4:5], v[20:21]
	v_fma_f64 v[20:21], -v[0:1], v[4:5], 1.0
	v_fmac_f64_e32 v[4:5], v[4:5], v[20:21]
	v_div_scale_f64 v[20:21], vcc, s[18:19], v[10:11], s[18:19]
	v_mul_f64 v[22:23], v[20:21], v[4:5]
	v_fma_f64 v[0:1], -v[0:1], v[22:23], v[20:21]
	s_nop 1
	v_div_fmas_f64 v[0:1], v[0:1], v[4:5], v[22:23]
	v_div_fixup_f64 v[0:1], v[0:1], v[10:11], s[18:19]
	s_mov_b32 s18, 0x34922721
	s_mov_b32 s19, 0x40b7160f
	v_add_f64 v[0:1], v[0:1], s[18:19]
	v_div_scale_f64 v[4:5], s[18:19], v[10:11], v[10:11], v[0:1]
	v_rcp_f64_e32 v[20:21], v[4:5]
	s_mov_b32 s18, 0x16a4b4d6
	s_mov_b32 s19, 0xbee5309b
	v_fmac_f64_e32 v[6:7], s[18:19], v[10:11]
	v_fma_f64 v[22:23], -v[4:5], v[20:21], 1.0
	v_fmac_f64_e32 v[20:21], v[20:21], v[22:23]
	v_fma_f64 v[22:23], -v[4:5], v[20:21], 1.0
	v_fmac_f64_e32 v[20:21], v[20:21], v[22:23]
	v_div_scale_f64 v[22:23], vcc, v[0:1], v[10:11], v[0:1]
	v_mul_f64 v[26:27], v[22:23], v[20:21]
	v_fma_f64 v[4:5], -v[4:5], v[26:27], v[22:23]
	s_mov_b32 s18, 0x9d14ec54
	s_nop 0
	v_div_fmas_f64 v[4:5], v[4:5], v[20:21], v[26:27]
	v_div_fixup_f64 v[0:1], v[4:5], v[10:11], v[0:1]
	s_mov_b32 s19, 0xc09ab04e
	v_add_f64 v[0:1], v[0:1], s[18:19]
	v_div_scale_f64 v[4:5], s[18:19], v[10:11], v[10:11], v[0:1]
	v_rcp_f64_e32 v[20:21], v[4:5]
	v_mov_b32_e32 v22, 0x181a5cbe
	v_mov_b32_e32 v23, 0xbfb13f8e
	v_fmac_f64_e32 v[22:23], v[10:11], v[6:7]
	v_fma_f64 v[6:7], -v[4:5], v[20:21], 1.0
	v_fmac_f64_e32 v[20:21], v[20:21], v[6:7]
	v_fma_f64 v[6:7], -v[4:5], v[20:21], 1.0
	v_fmac_f64_e32 v[20:21], v[20:21], v[6:7]
	v_div_scale_f64 v[6:7], vcc, v[0:1], v[10:11], v[0:1]
	v_mul_f64 v[26:27], v[6:7], v[20:21]
	v_fma_f64 v[4:5], -v[4:5], v[26:27], v[6:7]
	s_mov_b32 s18, 0x48360283
	s_nop 0
	v_div_fmas_f64 v[4:5], v[4:5], v[20:21], v[26:27]
	v_div_fixup_f64 v[0:1], v[4:5], v[10:11], v[0:1]
	s_mov_b32 s19, 0x40708896
	v_add_f64 v[0:1], v[0:1], s[18:19]
	v_div_scale_f64 v[4:5], s[18:19], v[10:11], v[10:11], v[0:1]
	v_rcp_f64_e32 v[6:7], v[4:5]
	v_mov_b32_e32 v20, 0x72eb3b81
	v_mov_b32_e32 v21, 0x3ff41ce6
	v_fmac_f64_e32 v[20:21], v[10:11], v[22:23]
	v_fma_f64 v[22:23], -v[4:5], v[6:7], 1.0
	v_fmac_f64_e32 v[6:7], v[6:7], v[22:23]
	v_fma_f64 v[22:23], -v[4:5], v[6:7], 1.0
	v_fmac_f64_e32 v[6:7], v[6:7], v[22:23]
	v_div_scale_f64 v[22:23], vcc, v[0:1], v[10:11], v[0:1]
	v_mul_f64 v[26:27], v[22:23], v[6:7]
	v_fma_f64 v[4:5], -v[4:5], v[26:27], v[22:23]
	s_mov_b32 s19, 0xbfd19dc7
	s_nop 0
	v_div_fmas_f64 v[4:5], v[4:5], v[6:7], v[26:27]
	s_mov_b32 s18, 0xafdb7b47
	v_div_fixup_f64 v[0:1], v[4:5], v[10:11], v[0:1]
	v_add_f64 v[6:7], v[10:11], s[18:19]
	s_mov_b32 s19, 0x3fd19dc7
	v_fmac_f64_e32 v[0:1], v[10:11], v[20:21]
	v_div_scale_f64 v[20:21], s[20:21], v[6:7], v[6:7], s[18:19]
	v_rcp_f64_e32 v[22:23], v[20:21]
	s_mov_b32 s20, 0x9b15dddc
	s_mov_b32 s21, 0xc037db67
	v_add_f64 v[4:5], v[0:1], s[20:21]
	v_fma_f64 v[0:1], -v[20:21], v[22:23], 1.0
	v_fmac_f64_e32 v[22:23], v[22:23], v[0:1]
	v_fma_f64 v[0:1], -v[20:21], v[22:23], 1.0
	v_fmac_f64_e32 v[22:23], v[22:23], v[0:1]
	v_div_scale_f64 v[0:1], vcc, s[18:19], v[6:7], s[18:19]
	s_mov_b32 s20, 0x19de963f
	v_mul_f64 v[26:27], v[0:1], v[22:23]
	s_mov_b32 s21, 0xc0a04924
	v_fma_f64 v[0:1], -v[20:21], v[26:27], v[0:1]
	v_div_scale_f64 v[20:21], s[22:23], v[10:11], v[10:11], s[20:21]
	v_rcp_f64_e32 v[28:29], v[20:21]
	v_div_fmas_f64 v[0:1], v[0:1], v[22:23], v[26:27]
	v_div_fixup_f64 v[0:1], v[0:1], v[6:7], s[18:19]
	s_mov_b32 s18, 0x7f0e6f2c
	v_fma_f64 v[6:7], -v[20:21], v[28:29], 1.0
	v_fmac_f64_e32 v[28:29], v[28:29], v[6:7]
	v_fma_f64 v[6:7], -v[20:21], v[28:29], 1.0
	v_fmac_f64_e32 v[28:29], v[28:29], v[6:7]
	v_div_scale_f64 v[6:7], vcc, s[20:21], v[10:11], s[20:21]
	v_mul_f64 v[22:23], v[6:7], v[28:29]
	v_fma_f64 v[6:7], -v[20:21], v[22:23], v[6:7]
	s_mov_b32 s19, 0xc09067f6
	s_nop 0
	v_div_fmas_f64 v[6:7], v[6:7], v[28:29], v[22:23]
	v_div_fixup_f64 v[6:7], v[6:7], v[10:11], s[20:21]
	v_add_f64 v[6:7], v[6:7], s[18:19]
	v_div_scale_f64 v[20:21], s[18:19], v[10:11], v[10:11], v[6:7]
	v_rcp_f64_e32 v[22:23], v[20:21]
	s_mov_b32 s18, 0x9eeef91a
	s_mov_b32 s19, 0x40753e43
	v_fmac_f64_e32 v[0:1], v[4:5], v[50:51]
	v_fma_f64 v[26:27], -v[20:21], v[22:23], 1.0
	v_fmac_f64_e32 v[22:23], v[22:23], v[26:27]
	v_fma_f64 v[26:27], -v[20:21], v[22:23], 1.0
	v_fmac_f64_e32 v[22:23], v[22:23], v[26:27]
	v_div_scale_f64 v[26:27], vcc, v[6:7], v[10:11], v[6:7]
	v_mul_f64 v[28:29], v[26:27], v[22:23]
	v_fma_f64 v[20:21], -v[20:21], v[28:29], v[26:27]
	v_mov_b32_e32 v4, 0x29a9a022
	s_nop 0
	v_div_fmas_f64 v[20:21], v[20:21], v[22:23], v[28:29]
	v_div_fixup_f64 v[6:7], v[20:21], v[10:11], v[6:7]
	v_add_f64 v[6:7], v[6:7], s[18:19]
	v_div_scale_f64 v[20:21], s[18:19], v[10:11], v[10:11], v[6:7]
	v_rcp_f64_e32 v[22:23], v[20:21]
	s_mov_b32 s18, 0xf5a2d1e4
	v_mov_b32_e32 v5, 0xbfb7ef76
	s_mov_b32 s19, 0x3f3637e1
	v_fma_f64 v[26:27], -v[20:21], v[22:23], 1.0
	v_fmac_f64_e32 v[22:23], v[22:23], v[26:27]
	v_fma_f64 v[26:27], -v[20:21], v[22:23], 1.0
	v_fmac_f64_e32 v[22:23], v[22:23], v[26:27]
	v_div_scale_f64 v[26:27], vcc, v[6:7], v[10:11], v[6:7]
	v_mul_f64 v[28:29], v[26:27], v[22:23]
	v_fma_f64 v[20:21], -v[20:21], v[28:29], v[26:27]
	v_fmac_f64_e32 v[4:5], s[18:19], v[10:11]
	s_nop 0
	v_div_fmas_f64 v[20:21], v[20:21], v[22:23], v[28:29]
	s_mov_b32 s18, 0xe25f0df2
	v_div_fixup_f64 v[6:7], v[20:21], v[10:11], v[6:7]
	s_mov_b32 s19, 0xc06385e9
	v_add_f64 v[6:7], v[6:7], s[18:19]
	v_div_scale_f64 v[20:21], s[18:19], v[10:11], v[10:11], v[6:7]
	v_rcp_f64_e32 v[22:23], v[20:21]
	v_mov_b32_e32 v26, 0x2d914f9c
	v_mov_b32_e32 v27, 0xc010e37f
	v_fmac_f64_e32 v[26:27], v[10:11], v[4:5]
	v_fma_f64 v[4:5], -v[20:21], v[22:23], 1.0
	v_fmac_f64_e32 v[22:23], v[22:23], v[4:5]
	v_fma_f64 v[4:5], -v[20:21], v[22:23], 1.0
	v_fmac_f64_e32 v[22:23], v[22:23], v[4:5]
	v_div_scale_f64 v[4:5], vcc, v[6:7], v[10:11], v[6:7]
	v_mul_f64 v[28:29], v[4:5], v[22:23]
	v_fma_f64 v[4:5], -v[20:21], v[28:29], v[4:5]
	s_mov_b32 s19, 0xc005cc47
	s_nop 0
	v_div_fmas_f64 v[4:5], v[4:5], v[22:23], v[28:29]
	s_mov_b32 s18, 0xa049083
	v_div_fixup_f64 v[4:5], v[4:5], v[10:11], v[6:7]
	v_add_f64 v[6:7], v[10:11], s[18:19]
	s_mov_b32 s19, 0x4005cc47
	v_fmac_f64_e32 v[4:5], v[10:11], v[26:27]
	v_div_scale_f64 v[10:11], s[20:21], v[6:7], v[6:7], s[18:19]
	v_rcp_f64_e32 v[20:21], v[10:11]
	s_mov_b32 s20, 0xbcdb75df
	s_mov_b32 s21, 0x4020044b
	v_add_f64 v[22:23], v[4:5], s[20:21]
	v_fma_f64 v[4:5], -v[10:11], v[20:21], 1.0
	v_fmac_f64_e32 v[20:21], v[20:21], v[4:5]
	v_fma_f64 v[4:5], -v[10:11], v[20:21], 1.0
	v_fmac_f64_e32 v[20:21], v[20:21], v[4:5]
	v_div_scale_f64 v[4:5], vcc, s[18:19], v[6:7], s[18:19]
	v_mul_f64 v[26:27], v[4:5], v[20:21]
	v_fma_f64 v[4:5], -v[10:11], v[26:27], v[4:5]
	s_nop 1
	v_div_fmas_f64 v[4:5], v[4:5], v[20:21], v[26:27]
	v_div_fixup_f64 v[4:5], v[4:5], v[6:7], s[18:19]
	v_fmac_f64_e32 v[4:5], v[22:23], v[50:51]
	v_add_f64 v[6:7], v[48:49], -v[2:3]
	v_fmac_f64_e32 v[48:49], v[0:1], v[6:7]
	v_add_f64 v[6:7], v[4:5], 1.0
	v_mul_f64 v[6:7], v[6:7], v[48:49]
	v_add_f64 v[10:11], v[4:5], -v[0:1]
	v_div_scale_f64 v[20:21], s[18:19], v[10:11], v[10:11], v[6:7]
	v_rcp_f64_e32 v[22:23], v[20:21]
	s_nop 0
	v_fma_f64 v[26:27], -v[20:21], v[22:23], 1.0
	v_fmac_f64_e32 v[22:23], v[22:23], v[26:27]
	v_fma_f64 v[26:27], -v[20:21], v[22:23], 1.0
	v_fmac_f64_e32 v[22:23], v[22:23], v[26:27]
	v_div_scale_f64 v[26:27], vcc, v[6:7], v[10:11], v[6:7]
	v_mul_f64 v[28:29], v[26:27], v[22:23]
	v_fma_f64 v[20:21], -v[20:21], v[28:29], v[26:27]
	v_mov_b64_e32 v[26:27], 0
	s_nop 0
	v_div_fmas_f64 v[20:21], v[20:21], v[22:23], v[28:29]
	v_div_fixup_f64 v[30:31], v[20:21], v[10:11], v[6:7]
	v_add_f64 v[2:3], v[2:3], -v[30:31]
	v_mov_b64_e32 v[6:7], 0
.LBB0_138:
	s_or_b64 exec, exec, s[16:17]
                                        ; implicit-def: $vgpr48_vgpr49
.LBB0_139:
	s_andn2_saveexec_b64 s[14:15], s[14:15]
	s_cbranch_execz .LBB0_143
; %bb.140:
	scratch_load_dword v0, off, s33 offset:932 ; 4-byte Folded Reload
	v_mov_b64_e32 v[6:7], 0
	s_waitcnt vmcnt(0)
	v_cmp_eq_u32_e32 vcc, 0, v0
	v_mov_b64_e32 v[0:1], 0
	s_and_saveexec_b64 s[16:17], vcc
	s_cbranch_execz .LBB0_142
; %bb.141:
	v_add_f64 v[0:1], v[2:3], -v[48:49]
	v_div_scale_f64 v[4:5], s[18:19], v[0:1], v[0:1], v[48:49]
	v_rcp_f64_e32 v[10:11], v[4:5]
	v_div_scale_f64 v[20:21], vcc, v[48:49], v[0:1], v[48:49]
	v_fma_f64 v[22:23], -v[4:5], v[10:11], 1.0
	v_fmac_f64_e32 v[10:11], v[10:11], v[22:23]
	v_fma_f64 v[22:23], -v[4:5], v[10:11], 1.0
	v_fmac_f64_e32 v[10:11], v[10:11], v[22:23]
	v_mul_f64 v[22:23], v[20:21], v[10:11]
	v_fma_f64 v[4:5], -v[4:5], v[22:23], v[20:21]
	v_div_fmas_f64 v[4:5], v[4:5], v[10:11], v[22:23]
	v_div_fixup_f64 v[0:1], v[4:5], v[0:1], v[48:49]
.LBB0_142:
	s_or_b64 exec, exec, s[16:17]
	v_mov_b64_e32 v[30:31], 0
	v_mov_b64_e32 v[26:27], 0
	;; [unrolled: 1-line block ×3, first 2 shown]
.LBB0_143:
	s_or_b64 exec, exec, s[14:15]
.LBB0_144:
	s_or_b64 exec, exec, s[12:13]
                                        ; implicit-def: $vgpr10_vgpr11
.LBB0_145:
	s_andn2_saveexec_b64 s[10:11], s[10:11]
	s_cbranch_execz .LBB0_159
; %bb.146:
	s_mov_b32 s12, 0x652b82fe
	s_mov_b32 s13, 0xbff71547
	v_mul_f64 v[0:1], v[10:11], s[12:13]
	s_mov_b32 s12, 0xfefa39ef
	v_rndne_f64_e32 v[0:1], v[0:1]
	s_mov_b32 s13, 0xbfe62e42
	v_fma_f64 v[2:3], v[0:1], s[12:13], -v[10:11]
	s_mov_b32 s12, 0x3b39803f
	s_mov_b32 s13, 0xbc7abc9e
	v_fmac_f64_e32 v[2:3], s[12:13], v[0:1]
	s_mov_b32 s12, 0x6a5dcb37
	v_mov_b32_e32 v4, 0xfca7ab0c
	v_mov_b32_e32 v5, 0x3e928af3
	s_mov_b32 s13, 0x3e5ade15
	v_fmac_f64_e32 v[4:5], s[12:13], v[2:3]
	s_mov_b32 s12, 0x320c7c1b
	s_mov_b32 s13, 0x3fde03b0
	v_div_scale_f64 v[20:21], s[14:15], v[10:11], v[10:11], s[12:13]
	v_rcp_f64_e32 v[22:23], v[20:21]
	v_mov_b32_e32 v6, 0x623fde64
	v_mov_b32_e32 v7, 0x3ec71dee
	v_fmac_f64_e32 v[6:7], v[2:3], v[4:5]
	v_fma_f64 v[26:27], -v[20:21], v[22:23], 1.0
	v_fmac_f64_e32 v[22:23], v[22:23], v[26:27]
	v_fma_f64 v[26:27], -v[20:21], v[22:23], 1.0
	v_fmac_f64_e32 v[22:23], v[22:23], v[26:27]
	v_div_scale_f64 v[26:27], vcc, s[12:13], v[10:11], s[12:13]
	v_mul_f64 v[28:29], v[26:27], v[22:23]
	v_fma_f64 v[20:21], -v[20:21], v[28:29], v[26:27]
	v_mov_b32_e32 v4, 0x7c89e6b0
	s_nop 0
	v_div_fmas_f64 v[20:21], v[20:21], v[22:23], v[28:29]
	v_div_fixup_f64 v[20:21], v[20:21], v[10:11], s[12:13]
	s_mov_b32 s12, 0x500ec265
	s_mov_b32 s13, 0xbfe662c3
	v_add_f64 v[20:21], v[20:21], s[12:13]
	v_div_scale_f64 v[22:23], s[12:13], v[10:11], v[10:11], v[20:21]
	v_rcp_f64_e32 v[26:27], v[22:23]
	s_mov_b32 s12, 0xe0bf7fc2
	s_mov_b32 s13, 0x3fe12e39
	v_mov_b32_e32 v5, 0x3efa0199
	v_fma_f64 v[28:29], -v[22:23], v[26:27], 1.0
	v_fmac_f64_e32 v[26:27], v[26:27], v[28:29]
	v_fma_f64 v[28:29], -v[22:23], v[26:27], 1.0
	v_fmac_f64_e32 v[26:27], v[26:27], v[28:29]
	v_div_scale_f64 v[28:29], vcc, v[20:21], v[10:11], v[20:21]
	v_mul_f64 v[30:31], v[28:29], v[26:27]
	v_fma_f64 v[22:23], -v[22:23], v[30:31], v[28:29]
	v_fmac_f64_e32 v[4:5], v[2:3], v[6:7]
	s_nop 0
	v_div_fmas_f64 v[22:23], v[22:23], v[26:27], v[30:31]
	v_div_fixup_f64 v[20:21], v[22:23], v[10:11], v[20:21]
	v_add_f64 v[20:21], v[20:21], s[12:13]
	v_div_scale_f64 v[22:23], s[12:13], v[10:11], v[10:11], v[20:21]
	v_rcp_f64_e32 v[26:27], v[22:23]
	s_mov_b32 s12, 0x4299d9ed
	s_mov_b32 s13, 0xbfd50b8e
	v_mov_b32_e32 v6, 0x14761f6e
	v_fma_f64 v[28:29], -v[22:23], v[26:27], 1.0
	v_fmac_f64_e32 v[26:27], v[26:27], v[28:29]
	v_fma_f64 v[28:29], -v[22:23], v[26:27], 1.0
	v_fmac_f64_e32 v[26:27], v[26:27], v[28:29]
	v_div_scale_f64 v[28:29], vcc, v[20:21], v[10:11], v[20:21]
	v_mul_f64 v[30:31], v[28:29], v[26:27]
	v_fma_f64 v[22:23], -v[22:23], v[30:31], v[28:29]
	v_mov_b32_e32 v7, 0x3f2a01a0
	s_nop 0
	v_div_fmas_f64 v[22:23], v[22:23], v[26:27], v[30:31]
	v_div_fixup_f64 v[20:21], v[22:23], v[10:11], v[20:21]
	v_add_f64 v[20:21], v[20:21], s[12:13]
	v_div_scale_f64 v[22:23], s[12:13], v[10:11], v[10:11], v[20:21]
	v_rcp_f64_e32 v[26:27], v[22:23]
	s_mov_b32 s12, 0x84950663
	s_mov_b32 s13, 0x3fcf8bde
	v_fmac_f64_e32 v[6:7], v[2:3], v[4:5]
	v_fma_f64 v[28:29], -v[22:23], v[26:27], 1.0
	v_fmac_f64_e32 v[26:27], v[26:27], v[28:29]
	v_fma_f64 v[28:29], -v[22:23], v[26:27], 1.0
	v_fmac_f64_e32 v[26:27], v[26:27], v[28:29]
	v_div_scale_f64 v[28:29], vcc, v[20:21], v[10:11], v[20:21]
	v_mul_f64 v[30:31], v[28:29], v[26:27]
	v_fma_f64 v[22:23], -v[22:23], v[30:31], v[28:29]
	v_mov_b32_e32 v4, 0x1852b7b0
	s_nop 0
	v_div_fmas_f64 v[22:23], v[22:23], v[26:27], v[30:31]
	v_div_fixup_f64 v[20:21], v[22:23], v[10:11], v[20:21]
	v_add_f64 v[20:21], v[20:21], s[12:13]
	v_mov_b32_e32 v5, 0x3f56c16c
	v_div_scale_f64 v[22:23], s[12:13], v[10:11], v[10:11], v[20:21]
	v_fmac_f64_e32 v[4:5], v[2:3], v[6:7]
	v_mov_b32_e32 v6, 0x11122322
	v_mov_b32_e32 v7, 0x3f811111
	v_rcp_f64_e32 v[26:27], v[22:23]
	v_fmac_f64_e32 v[6:7], v[2:3], v[4:5]
	v_mov_b32_e32 v4, 0x555502a1
	v_mov_b32_e32 v5, 0x3fa55555
	v_fmac_f64_e32 v[4:5], v[2:3], v[6:7]
	v_mov_b32_e32 v6, 0x55555511
	v_mov_b32_e32 v7, 0x3fc55555
	;; [unrolled: 3-line block ×3, first 2 shown]
	v_fmac_f64_e32 v[4:5], v[2:3], v[6:7]
	v_fma_f64 v[6:7], -v[22:23], v[26:27], 1.0
	v_fmac_f64_e32 v[26:27], v[26:27], v[6:7]
	v_fma_f64 v[6:7], -v[22:23], v[26:27], 1.0
	v_fmac_f64_e32 v[26:27], v[26:27], v[6:7]
	v_div_scale_f64 v[6:7], vcc, v[20:21], v[10:11], v[20:21]
	v_mul_f64 v[28:29], v[6:7], v[26:27]
	v_fma_f64 v[6:7], -v[22:23], v[28:29], v[6:7]
	s_mov_b32 s12, 0xf7832524
	s_nop 0
	v_div_fmas_f64 v[6:7], v[6:7], v[26:27], v[28:29]
	v_div_fixup_f64 v[6:7], v[6:7], v[10:11], v[20:21]
	s_mov_b32 s13, 0xbfdffd63
	v_add_f64 v[6:7], v[6:7], s[12:13]
	v_div_scale_f64 v[20:21], s[12:13], v[10:11], v[10:11], v[6:7]
	v_rcp_f64_e32 v[22:23], v[20:21]
	v_fma_f64 v[4:5], v[2:3], v[4:5], 1.0
	v_fma_f64 v[2:3], v[2:3], v[4:5], 1.0
	v_cvt_i32_f64_e32 v0, v[0:1]
	v_ldexp_f64 v[50:51], v[2:3], v0
	v_fma_f64 v[0:1], -v[20:21], v[22:23], 1.0
	v_fmac_f64_e32 v[22:23], v[22:23], v[0:1]
	v_fma_f64 v[0:1], -v[20:21], v[22:23], 1.0
	s_mov_b32 s12, 0x54442d15
	v_fmac_f64_e32 v[22:23], v[22:23], v[0:1]
	v_div_scale_f64 v[0:1], vcc, v[6:7], v[10:11], v[6:7]
	s_mov_b32 s13, 0x3fe921fb
	v_mul_f64 v[2:3], v[0:1], v[22:23]
	v_div_scale_f64 v[4:5], s[14:15], v[10:11], v[10:11], s[12:13]
	v_fma_f64 v[0:1], -v[20:21], v[2:3], v[0:1]
	v_rcp_f64_e32 v[20:21], v[4:5]
	v_div_fmas_f64 v[0:1], v[0:1], v[22:23], v[2:3]
	v_div_fixup_f64 v[0:1], v[0:1], v[10:11], v[6:7]
	v_add_f64 v[52:53], v[10:11], v[10:11]
	v_fma_f64 v[2:3], -v[4:5], v[20:21], 1.0
	v_fmac_f64_e32 v[20:21], v[20:21], v[2:3]
	v_fma_f64 v[2:3], -v[4:5], v[20:21], 1.0
	v_fmac_f64_e32 v[20:21], v[20:21], v[2:3]
	v_div_scale_f64 v[2:3], vcc, s[12:13], v[10:11], s[12:13]
	v_mul_f64 v[6:7], v[2:3], v[20:21]
	v_fma_f64 v[2:3], -v[4:5], v[6:7], v[2:3]
	v_mov_b32_e32 v4, 0x100
	s_nop 0
	v_div_fmas_f64 v[2:3], v[2:3], v[20:21], v[6:7]
	v_div_fixup_f64 v[2:3], v[2:3], v[10:11], s[12:13]
	s_mov_b32 s12, 0
	s_brev_b32 s13, 8
	v_cmp_gt_f64_e32 vcc, s[12:13], v[2:3]
	s_mov_b32 s12, 0x1eb6fd83
	s_mov_b32 s13, 0xbeca6cce
	v_cndmask_b32_e32 v4, 0, v4, vcc
	v_ldexp_f64 v[2:3], v[2:3], v4
	v_rsq_f64_e32 v[4:5], v[2:3]
	v_add_f64 v[0:1], v[0:1], s[12:13]
                                        ; implicit-def: $vgpr30_vgpr31
                                        ; implicit-def: $vgpr26_vgpr27
	v_mul_f64 v[6:7], v[2:3], v[4:5]
	v_mul_f64 v[4:5], v[4:5], 0.5
	v_fma_f64 v[20:21], -v[4:5], v[6:7], 0.5
	v_fmac_f64_e32 v[6:7], v[6:7], v[20:21]
	v_fma_f64 v[22:23], -v[6:7], v[6:7], v[2:3]
	v_fmac_f64_e32 v[4:5], v[4:5], v[20:21]
	v_fmac_f64_e32 v[6:7], v[22:23], v[4:5]
	v_fma_f64 v[20:21], -v[6:7], v[6:7], v[2:3]
	v_fmac_f64_e32 v[6:7], v[20:21], v[4:5]
	v_mov_b32_e32 v4, 0xffffff80
	v_cndmask_b32_e32 v4, 0, v4, vcc
	v_ldexp_f64 v[4:5], v[6:7], v4
	v_mov_b32_e32 v6, 0x260
	v_cmp_class_f64_e32 vcc, v[2:3], v6
	s_nop 1
	v_cndmask_b32_e32 v3, v5, v3, vcc
	v_cndmask_b32_e32 v2, v4, v2, vcc
	v_fmac_f64_e32 v[2:3], v[0:1], v[50:51]
	v_add_f64 v[0:1], v[2:3], -v[50:51]
	v_div_scale_f64 v[4:5], s[12:13], v[52:53], v[52:53], v[0:1]
	v_rcp_f64_e32 v[6:7], v[4:5]
	s_nop 0
	v_fma_f64 v[20:21], -v[4:5], v[6:7], 1.0
	v_fmac_f64_e32 v[6:7], v[6:7], v[20:21]
	v_fma_f64 v[20:21], -v[4:5], v[6:7], 1.0
	v_fmac_f64_e32 v[6:7], v[6:7], v[20:21]
	v_div_scale_f64 v[20:21], vcc, v[0:1], v[52:53], v[0:1]
	v_mul_f64 v[22:23], v[20:21], v[6:7]
	v_fma_f64 v[4:5], -v[4:5], v[22:23], v[20:21]
	s_nop 1
	v_div_fmas_f64 v[4:5], v[4:5], v[6:7], v[22:23]
	v_div_fixup_f64 v[48:49], v[4:5], v[52:53], v[0:1]
	scratch_load_dword v0, off, s33 offset:932 ; 4-byte Folded Reload
                                        ; implicit-def: $vgpr6_vgpr7
                                        ; implicit-def: $vgpr4_vgpr5
	s_waitcnt vmcnt(0)
	v_cmp_lt_i32_e32 vcc, 0, v0
                                        ; implicit-def: $vgpr0_vgpr1
	s_and_saveexec_b64 s[12:13], vcc
	s_xor_b64 s[12:13], exec, s[12:13]
	s_cbranch_execz .LBB0_154
; %bb.147:
	scratch_load_dword v0, off, s33 offset:932 ; 4-byte Folded Reload
                                        ; implicit-def: $vgpr6_vgpr7
                                        ; implicit-def: $vgpr30_vgpr31
                                        ; implicit-def: $vgpr26_vgpr27
                                        ; implicit-def: $vgpr4_vgpr5
	s_waitcnt vmcnt(0)
	v_cmp_lt_i32_e32 vcc, 1, v0
                                        ; implicit-def: $vgpr0_vgpr1
	s_and_saveexec_b64 s[14:15], vcc
	s_xor_b64 s[14:15], exec, s[14:15]
	s_cbranch_execz .LBB0_151
; %bb.148:
	scratch_load_dword v0, off, s33 offset:932 ; 4-byte Folded Reload
	v_mov_b64_e32 v[6:7], 0
	v_mov_b64_e32 v[30:31], 0
	;; [unrolled: 1-line block ×4, first 2 shown]
	s_waitcnt vmcnt(0)
	v_cmp_eq_u32_e32 vcc, 2, v0
	v_mov_b64_e32 v[0:1], 0
	s_and_saveexec_b64 s[16:17], vcc
	s_cbranch_execz .LBB0_150
; %bb.149:
	v_fma_f64 v[0:1], 2.0, v[48:49], v[48:49]
	v_add_f64 v[0:1], v[0:1], -v[50:51]
	v_div_scale_f64 v[4:5], s[18:19], v[52:53], v[52:53], v[0:1]
	v_rcp_f64_e32 v[6:7], v[4:5]
	v_div_scale_f64 v[20:21], vcc, v[0:1], v[52:53], v[0:1]
	s_mov_b32 s18, 0
	v_fma_f64 v[22:23], -v[4:5], v[6:7], 1.0
	v_fmac_f64_e32 v[6:7], v[6:7], v[22:23]
	v_fma_f64 v[22:23], -v[4:5], v[6:7], 1.0
	v_fmac_f64_e32 v[6:7], v[6:7], v[22:23]
	v_mul_f64 v[22:23], v[20:21], v[6:7]
	v_fma_f64 v[4:5], -v[4:5], v[22:23], v[20:21]
	s_mov_b32 s19, 0xc01e0000
	v_div_fmas_f64 v[4:5], v[4:5], v[6:7], v[22:23]
	v_add_f64 v[10:11], v[10:11], s[18:19]
	s_mov_b32 s18, 0x136ccd62
	v_div_fixup_f64 v[6:7], v[4:5], v[52:53], v[0:1]
	v_mov_b32_e32 v0, 0xd44f4e0
	v_mov_b32_e32 v1, 0x3cc9a5f9
	s_mov_b32 s19, 0x3cc4b22d
	v_fmac_f64_e32 v[0:1], s[18:19], v[10:11]
	v_mov_b32_e32 v4, 0x13514cb1
	v_mov_b32_e32 v5, 0xbd32f64e
	v_fmac_f64_e32 v[4:5], v[10:11], v[0:1]
	v_mov_b32_e32 v0, 0x9c556712
	v_mov_b32_e32 v1, 0xbd660aa9
	;; [unrolled: 3-line block ×10, first 2 shown]
	s_mov_b32 s18, 0x83f527a3
	v_fmac_f64_e32 v[20:21], v[10:11], v[4:5]
	v_mov_b32_e32 v0, 0x24a6a762
	v_mov_b32_e32 v1, 0x3f987c2f
	;; [unrolled: 1-line block ×4, first 2 shown]
	s_mov_b32 s19, 0x3d098cc2
	v_fmac_f64_e32 v[0:1], v[10:11], v[20:21]
	v_fmac_f64_e32 v[4:5], s[18:19], v[10:11]
	v_mov_b32_e32 v20, 0x9914dc55
	v_mov_b32_e32 v21, 0xbd6e3e3e
	v_fmac_f64_e32 v[20:21], v[10:11], v[4:5]
	v_mov_b32_e32 v4, 0x339d6523
	v_mov_b32_e32 v5, 0xbd974816
	;; [unrolled: 3-line block ×10, first 2 shown]
	s_mov_b32 s18, 0xd4a5627c
	v_fmac_f64_e32 v[22:23], v[10:11], v[20:21]
	v_mov_b32_e32 v4, 0xc1e010c6
	v_mov_b32_e32 v5, 0x3fd1a97b
	;; [unrolled: 1-line block ×4, first 2 shown]
	s_mov_b32 s19, 0x3cfe025e
	v_fmac_f64_e32 v[4:5], v[10:11], v[22:23]
	v_fmac_f64_e32 v[20:21], s[18:19], v[10:11]
	v_mov_b32_e32 v22, 0xef3b2539
	v_mov_b32_e32 v23, 0xbd817623
	v_fmac_f64_e32 v[22:23], v[10:11], v[20:21]
	v_mov_b32_e32 v20, 0x7fd755ca
	v_mov_b32_e32 v21, 0xbdb96415
	;; [unrolled: 3-line block ×11, first 2 shown]
	v_fmac_f64_e32 v[22:23], v[10:11], v[20:21]
	v_add_f64 v[20:21], v[0:1], 1.0
	v_div_scale_f64 v[28:29], s[18:19], v[20:21], v[20:21], v[0:1]
	v_rcp_f64_e32 v[30:31], v[28:29]
	v_mov_b32_e32 v26, 0xe9f5dcdc
	v_mov_b32_e32 v27, 0x3ffbc5f3
	v_fmac_f64_e32 v[26:27], v[10:11], v[22:23]
	v_fma_f64 v[10:11], -v[28:29], v[30:31], 1.0
	v_fmac_f64_e32 v[30:31], v[30:31], v[10:11]
	v_fma_f64 v[10:11], -v[28:29], v[30:31], 1.0
	v_fmac_f64_e32 v[30:31], v[30:31], v[10:11]
	v_div_scale_f64 v[10:11], vcc, v[0:1], v[20:21], v[0:1]
	v_mul_f64 v[22:23], v[10:11], v[30:31]
	v_fma_f64 v[10:11], -v[28:29], v[22:23], v[10:11]
	v_add_f64 v[28:29], v[4:5], 1.0
	v_div_scale_f64 v[32:33], s[18:19], v[28:29], v[28:29], v[4:5]
	v_rcp_f64_e32 v[34:35], v[32:33]
	v_div_fmas_f64 v[10:11], v[10:11], v[30:31], v[22:23]
	v_div_fixup_f64 v[10:11], v[10:11], v[20:21], v[0:1]
	v_add_f64 v[30:31], v[26:27], 1.0
	v_fma_f64 v[20:21], -v[32:33], v[34:35], 1.0
	v_fmac_f64_e32 v[34:35], v[34:35], v[20:21]
	v_fma_f64 v[20:21], -v[32:33], v[34:35], 1.0
	v_fmac_f64_e32 v[34:35], v[34:35], v[20:21]
	v_div_scale_f64 v[20:21], vcc, v[4:5], v[28:29], v[4:5]
	v_mul_f64 v[22:23], v[20:21], v[34:35]
	v_fma_f64 v[20:21], -v[32:33], v[22:23], v[20:21]
	v_div_scale_f64 v[32:33], s[18:19], v[30:31], v[30:31], v[26:27]
	v_rcp_f64_e32 v[50:51], v[32:33]
	v_div_fmas_f64 v[20:21], v[20:21], v[34:35], v[22:23]
	v_div_fixup_f64 v[20:21], v[20:21], v[28:29], v[4:5]
	v_fma_f64 v[6:7], -v[48:49], v[10:11], v[6:7]
	v_fma_f64 v[22:23], -v[32:33], v[50:51], 1.0
	v_fmac_f64_e32 v[50:51], v[50:51], v[22:23]
	v_fma_f64 v[22:23], -v[32:33], v[50:51], 1.0
	v_fmac_f64_e32 v[50:51], v[50:51], v[22:23]
	v_div_scale_f64 v[22:23], vcc, v[26:27], v[30:31], v[26:27]
	v_mul_f64 v[28:29], v[22:23], v[50:51]
	v_fma_f64 v[22:23], -v[32:33], v[28:29], v[22:23]
	s_nop 1
	v_div_fmas_f64 v[22:23], v[22:23], v[50:51], v[28:29]
	v_div_fixup_f64 v[22:23], v[22:23], v[30:31], v[26:27]
	v_fma_f64 v[28:29], -v[2:3], v[10:11], v[48:49]
	v_add_f64 v[32:33], v[22:23], -v[20:21]
	v_add_f64 v[34:35], v[22:23], -v[10:11]
	v_fma_f64 v[30:31], -v[20:21], v[28:29], v[6:7]
	v_mul_f64 v[34:35], v[32:33], v[34:35]
	v_div_scale_f64 v[48:49], s[18:19], v[34:35], v[34:35], v[30:31]
	v_rcp_f64_e32 v[50:51], v[48:49]
	v_fma_f64 v[22:23], v[22:23], v[28:29], -v[6:7]
	v_add_f64 v[6:7], v[20:21], -v[10:11]
	v_mul_f64 v[10:11], v[6:7], v[32:33]
	v_fma_f64 v[52:53], -v[48:49], v[50:51], 1.0
	v_fmac_f64_e32 v[50:51], v[50:51], v[52:53]
	v_fma_f64 v[52:53], -v[48:49], v[50:51], 1.0
	v_div_scale_f64 v[20:21], s[18:19], v[10:11], v[10:11], v[22:23]
	v_fmac_f64_e32 v[50:51], v[50:51], v[52:53]
	v_div_scale_f64 v[52:53], vcc, v[30:31], v[34:35], v[30:31]
	v_rcp_f64_e32 v[28:29], v[20:21]
	v_mul_f64 v[54:55], v[52:53], v[50:51]
	v_fma_f64 v[48:49], -v[48:49], v[54:55], v[52:53]
	s_nop 0
	v_div_fmas_f64 v[6:7], v[48:49], v[50:51], v[54:55]
	v_div_fixup_f64 v[6:7], v[6:7], v[34:35], v[30:31]
	v_fma_f64 v[30:31], -v[20:21], v[28:29], 1.0
	v_fmac_f64_e32 v[28:29], v[28:29], v[30:31]
	v_fma_f64 v[30:31], -v[20:21], v[28:29], 1.0
	v_fmac_f64_e32 v[28:29], v[28:29], v[30:31]
	v_div_scale_f64 v[30:31], vcc, v[22:23], v[10:11], v[22:23]
	v_mul_f64 v[32:33], v[30:31], v[28:29]
	v_fma_f64 v[20:21], -v[20:21], v[32:33], v[30:31]
	s_nop 1
	v_div_fmas_f64 v[20:21], v[20:21], v[28:29], v[32:33]
	v_div_fixup_f64 v[30:31], v[20:21], v[10:11], v[22:23]
	v_add_f64 v[2:3], v[2:3], -v[30:31]
	v_add_f64 v[2:3], v[2:3], -v[6:7]
.LBB0_150:
	s_or_b64 exec, exec, s[16:17]
                                        ; implicit-def: $vgpr10_vgpr11
                                        ; implicit-def: $vgpr48_vgpr49
.LBB0_151:
	s_andn2_saveexec_b64 s[14:15], s[14:15]
	s_cbranch_execz .LBB0_153
; %bb.152:
	s_mov_b32 s16, 0
	s_mov_b32 s17, 0xc01e0000
	v_add_f64 v[6:7], v[10:11], s[16:17]
	s_mov_b32 s16, 0xc8096513
	v_mov_b32_e32 v0, 0x9bb322b7
	v_mov_b32_e32 v1, 0x3cb129fe
	s_mov_b32 s17, 0xbca4b31c
	v_fmac_f64_e32 v[0:1], s[16:17], v[6:7]
	v_mov_b32_e32 v4, 0xf344837f
	v_mov_b32_e32 v5, 0x3d0e962d
	v_fmac_f64_e32 v[4:5], v[6:7], v[0:1]
	v_mov_b32_e32 v0, 0x704323a2
	v_mov_b32_e32 v1, 0xbd33e286
	;; [unrolled: 3-line block ×12, first 2 shown]
	s_mov_b32 s16, 0x284a2a61
	v_fmac_f64_e32 v[10:11], v[6:7], v[4:5]
	v_mov_b32_e32 v0, 0xa2c66ab2
	v_mov_b32_e32 v1, 0x3fa311e3
	;; [unrolled: 1-line block ×4, first 2 shown]
	s_mov_b32 s17, 0x3d1c02ee
	v_fmac_f64_e32 v[0:1], v[6:7], v[10:11]
	v_fmac_f64_e32 v[4:5], s[16:17], v[6:7]
	v_mov_b32_e32 v10, 0x73e17dd6
	v_mov_b32_e32 v11, 0xbd8390c1
	v_fmac_f64_e32 v[10:11], v[6:7], v[4:5]
	v_mov_b32_e32 v4, 0x2901fb87
	v_mov_b32_e32 v5, 0x3dc709b0
	;; [unrolled: 3-line block ×12, first 2 shown]
	v_fmac_f64_e32 v[4:5], v[6:7], v[10:11]
	v_add_f64 v[6:7], v[48:49], -v[2:3]
	v_fmac_f64_e32 v[48:49], v[6:7], v[0:1]
	v_add_f64 v[6:7], v[4:5], 1.0
	v_mul_f64 v[6:7], v[6:7], v[48:49]
	v_add_f64 v[10:11], v[4:5], -v[0:1]
	v_div_scale_f64 v[20:21], s[16:17], v[10:11], v[10:11], v[6:7]
	v_rcp_f64_e32 v[22:23], v[20:21]
	s_nop 0
	v_fma_f64 v[26:27], -v[20:21], v[22:23], 1.0
	v_fmac_f64_e32 v[22:23], v[22:23], v[26:27]
	v_fma_f64 v[26:27], -v[20:21], v[22:23], 1.0
	v_fmac_f64_e32 v[22:23], v[22:23], v[26:27]
	v_div_scale_f64 v[26:27], vcc, v[6:7], v[10:11], v[6:7]
	v_mul_f64 v[28:29], v[26:27], v[22:23]
	v_fma_f64 v[20:21], -v[20:21], v[28:29], v[26:27]
	v_mov_b64_e32 v[26:27], 0
	s_nop 0
	v_div_fmas_f64 v[20:21], v[20:21], v[22:23], v[28:29]
	v_div_fixup_f64 v[30:31], v[20:21], v[10:11], v[6:7]
	v_add_f64 v[2:3], v[2:3], -v[30:31]
	v_mov_b64_e32 v[6:7], 0
.LBB0_153:
	s_or_b64 exec, exec, s[14:15]
                                        ; implicit-def: $vgpr48_vgpr49
.LBB0_154:
	s_andn2_saveexec_b64 s[12:13], s[12:13]
	s_cbranch_execz .LBB0_158
; %bb.155:
	scratch_load_dword v0, off, s33 offset:932 ; 4-byte Folded Reload
	v_mov_b64_e32 v[6:7], 0
	s_waitcnt vmcnt(0)
	v_cmp_eq_u32_e32 vcc, 0, v0
	v_mov_b64_e32 v[0:1], 0
	s_and_saveexec_b64 s[14:15], vcc
	s_cbranch_execz .LBB0_157
; %bb.156:
	v_add_f64 v[0:1], v[2:3], -v[48:49]
	v_div_scale_f64 v[4:5], s[16:17], v[0:1], v[0:1], v[48:49]
	v_rcp_f64_e32 v[10:11], v[4:5]
	v_div_scale_f64 v[20:21], vcc, v[48:49], v[0:1], v[48:49]
	v_fma_f64 v[22:23], -v[4:5], v[10:11], 1.0
	v_fmac_f64_e32 v[10:11], v[10:11], v[22:23]
	v_fma_f64 v[22:23], -v[4:5], v[10:11], 1.0
	v_fmac_f64_e32 v[10:11], v[10:11], v[22:23]
	v_mul_f64 v[22:23], v[20:21], v[10:11]
	v_fma_f64 v[4:5], -v[4:5], v[22:23], v[20:21]
	v_div_fmas_f64 v[4:5], v[4:5], v[10:11], v[22:23]
	v_div_fixup_f64 v[0:1], v[4:5], v[0:1], v[48:49]
.LBB0_157:
	s_or_b64 exec, exec, s[14:15]
	v_mov_b64_e32 v[30:31], 0
	v_mov_b64_e32 v[26:27], 0
	;; [unrolled: 1-line block ×3, first 2 shown]
.LBB0_158:
	s_or_b64 exec, exec, s[12:13]
.LBB0_159:
	s_or_b64 exec, exec, s[10:11]
                                        ; implicit-def: $vgpr10_vgpr11
.LBB0_160:
	s_andn2_saveexec_b64 s[8:9], s[8:9]
	s_cbranch_execz .LBB0_298
; %bb.161:
	scratch_load_dword v0, off, s33 offset:932 ; 4-byte Folded Reload
	v_add_f64 v[48:49], v[10:11], -4.0
                                        ; implicit-def: $vgpr6_vgpr7
                                        ; implicit-def: $vgpr30_vgpr31
                                        ; implicit-def: $vgpr2_vgpr3
                                        ; implicit-def: $vgpr26_vgpr27
                                        ; implicit-def: $vgpr4_vgpr5
	s_waitcnt vmcnt(0)
	v_cmp_lt_i32_e32 vcc, 0, v0
                                        ; implicit-def: $vgpr0_vgpr1
	s_and_saveexec_b64 s[10:11], vcc
	s_xor_b64 s[10:11], exec, s[10:11]
	s_cbranch_execz .LBB0_169
; %bb.162:
	scratch_load_dword v0, off, s33 offset:932 ; 4-byte Folded Reload
                                        ; implicit-def: $vgpr6_vgpr7
                                        ; implicit-def: $vgpr30_vgpr31
                                        ; implicit-def: $vgpr2_vgpr3
                                        ; implicit-def: $vgpr26_vgpr27
                                        ; implicit-def: $vgpr4_vgpr5
	s_waitcnt vmcnt(0)
	v_cmp_lt_i32_e32 vcc, 1, v0
                                        ; implicit-def: $vgpr0_vgpr1
	s_and_saveexec_b64 s[12:13], vcc
	s_xor_b64 s[12:13], exec, s[12:13]
	s_cbranch_execz .LBB0_166
; %bb.163:
	scratch_load_dword v0, off, s33 offset:932 ; 4-byte Folded Reload
	v_mov_b64_e32 v[6:7], 0
	v_mov_b64_e32 v[30:31], 0
	;; [unrolled: 1-line block ×5, first 2 shown]
	s_waitcnt vmcnt(0)
	v_cmp_eq_u32_e32 vcc, 2, v0
	v_mov_b64_e32 v[0:1], 0
	s_and_saveexec_b64 s[14:15], vcc
	s_cbranch_execz .LBB0_165
; %bb.164:
	s_mov_b32 s16, 0xfb34e0d3
	v_mov_b32_e32 v0, 0x68302304
	v_mov_b32_e32 v1, 0xbe000873
	s_mov_b32 s17, 0x3dafb96f
	v_fmac_f64_e32 v[0:1], s[16:17], v[48:49]
	v_mov_b32_e32 v2, 0xfad6a4de
	v_mov_b32_e32 v3, 0x3e406d2a
	v_fmac_f64_e32 v[2:3], v[48:49], v[0:1]
	v_mov_b32_e32 v0, 0xae32011a
	v_mov_b32_e32 v1, 0xbe80820a
	;; [unrolled: 3-line block ×6, first 2 shown]
	s_mov_b32 s16, 0xc0ebc727
	v_fmac_f64_e32 v[4:5], v[48:49], v[2:3]
	v_mov_b32_e32 v0, 0xe333147e
	v_mov_b32_e32 v1, 0x3fa1f74b
	;; [unrolled: 1-line block ×4, first 2 shown]
	s_mov_b32 s17, 0xbdbd31e4
	v_fmac_f64_e32 v[0:1], v[48:49], v[4:5]
	v_fmac_f64_e32 v[2:3], s[16:17], v[48:49]
	v_mov_b32_e32 v4, 0x62360679
	v_mov_b32_e32 v5, 0x3e228d41
	v_fmac_f64_e32 v[4:5], v[48:49], v[2:3]
	v_mov_b32_e32 v2, 0x2720acbd
	v_mov_b32_e32 v3, 0xbe755783
	;; [unrolled: 3-line block ×7, first 2 shown]
	s_mov_b32 s16, 0xeec8a0c9
	v_fmac_f64_e32 v[6:7], v[48:49], v[2:3]
	v_mov_b32_e32 v4, 0x3184cb0f
	v_mov_b32_e32 v5, 0x3fdb9876
	;; [unrolled: 1-line block ×4, first 2 shown]
	s_mov_b32 s17, 0xbdfafecd
	v_fmac_f64_e32 v[4:5], v[48:49], v[6:7]
	v_fmac_f64_e32 v[2:3], s[16:17], v[48:49]
	v_mov_b32_e32 v6, 0x8008685d
	v_mov_b32_e32 v7, 0x3e67c07a
	v_fmac_f64_e32 v[6:7], v[48:49], v[2:3]
	v_mov_b32_e32 v2, 0x52d3e3e0
	v_mov_b32_e32 v3, 0x3ea57e7e
	v_fmac_f64_e32 v[2:3], v[48:49], v[6:7]
	v_mov_b32_e32 v6, 0x7dff9dc9
	v_mov_b32_e32 v7, 0xbec9a0d4
	v_fmac_f64_e32 v[6:7], v[48:49], v[2:3]
	v_mov_b32_e32 v2, 0x2016f87c
	v_mov_b32_e32 v3, 0xbf1b9a53
	v_fmac_f64_e32 v[2:3], v[48:49], v[6:7]
	v_mov_b32_e32 v6, 0xbd4fd1c4
	v_mov_b32_e32 v7, 0xbf441f9e
	v_fmac_f64_e32 v[6:7], v[48:49], v[2:3]
	v_mov_b32_e32 v20, 0xc9c5517b
	v_mov_b32_e32 v21, 0x3fa91225
	s_mov_b32 s16, 0xecc42bc2
	v_fmac_f64_e32 v[20:21], v[48:49], v[6:7]
	v_mov_b32_e32 v2, 0x759fda0
	v_mov_b32_e32 v3, 0xbfe3fbe4
	;; [unrolled: 1-line block ×4, first 2 shown]
	s_mov_b32 s17, 0xbdba0902
	v_fmac_f64_e32 v[2:3], v[48:49], v[20:21]
	v_fmac_f64_e32 v[6:7], s[16:17], v[48:49]
	v_mov_b32_e32 v20, 0x8a6f9cbe
	v_mov_b32_e32 v21, 0xbe2b5357
	v_fmac_f64_e32 v[20:21], v[48:49], v[6:7]
	v_mov_b32_e32 v6, 0x292b0b5e
	v_mov_b32_e32 v7, 0x3e617765
	;; [unrolled: 3-line block ×9, first 2 shown]
	s_mov_b32 s16, 0x652b82fe
	v_fmac_f64_e32 v[20:21], v[48:49], v[6:7]
	v_mov_b32_e32 v6, 0x54e3eb24
	v_mov_b32_e32 v7, 0x3f91f247
	s_mov_b32 s17, 0xbff71547
	v_fmac_f64_e32 v[6:7], v[48:49], v[20:21]
	v_mul_f64 v[20:21], v[10:11], s[16:17]
	s_mov_b32 s16, 0xfefa39ef
	v_rndne_f64_e32 v[26:27], v[20:21]
	s_mov_b32 s17, 0xbfe62e42
	v_fma_f64 v[30:31], v[26:27], s[16:17], -v[10:11]
	s_mov_b32 s16, 0x3b39803f
	s_mov_b32 s17, 0xbc7abc9e
	v_fmac_f64_e32 v[30:31], s[16:17], v[26:27]
	s_mov_b32 s16, 0x6a5dcb37
	v_mov_b32_e32 v20, 0xfca7ab0c
	v_mov_b32_e32 v21, 0x3e928af3
	s_mov_b32 s17, 0x3e5ade15
	v_fmac_f64_e32 v[20:21], s[16:17], v[30:31]
	v_mov_b32_e32 v22, 0x623fde64
	v_mov_b32_e32 v23, 0x3ec71dee
	v_fmac_f64_e32 v[22:23], v[30:31], v[20:21]
	v_mov_b32_e32 v20, 0x7c89e6b0
	v_mov_b32_e32 v21, 0x3efa0199
	;; [unrolled: 3-line block ×8, first 2 shown]
	v_fmac_f64_e32 v[20:21], v[30:31], v[22:23]
	v_fma_f64 v[20:21], v[30:31], v[20:21], 1.0
	s_mov_b32 s16, 0
	v_fma_f64 v[20:21], v[30:31], v[20:21], 1.0
	v_cvt_i32_f64_e32 v22, v[26:27]
	s_mov_b32 s17, 0x4090cc00
	v_ldexp_f64 v[20:21], v[20:21], v22
	v_cmp_nlt_f64_e32 vcc, s[16:17], v[10:11]
	v_add_f64 v[10:11], v[10:11], v[10:11]
	s_mov_b32 s16, 0
	v_cndmask_b32_e32 v51, 0, v21, vcc
	v_cndmask_b32_e32 v50, 0, v20, vcc
	v_fma_f64 v[20:21], v[10:11], v[6:7], v[50:51]
	s_mov_b32 s17, 0x40080000
	v_div_scale_f64 v[22:23], s[18:19], s[16:17], s[16:17], v[20:21]
	v_rcp_f64_e32 v[28:29], v[22:23]
	v_mov_b32_e32 v26, 0x6234aecc
	v_mov_b32_e32 v27, 0x400ae9b9
	v_fmac_f64_e32 v[26:27], v[48:49], v[2:3]
	v_fma_f64 v[2:3], -v[22:23], v[28:29], 1.0
	v_fmac_f64_e32 v[28:29], v[28:29], v[2:3]
	v_fma_f64 v[2:3], -v[22:23], v[28:29], 1.0
	v_fmac_f64_e32 v[28:29], v[28:29], v[2:3]
	v_div_scale_f64 v[2:3], vcc, v[20:21], s[16:17], v[20:21]
	v_mul_f64 v[30:31], v[2:3], v[28:29]
	v_fma_f64 v[2:3], -v[22:23], v[30:31], v[2:3]
	v_add_f64 v[22:23], v[0:1], 1.0
	v_div_scale_f64 v[32:33], s[18:19], v[22:23], v[22:23], v[0:1]
	v_rcp_f64_e32 v[34:35], v[32:33]
	v_div_fmas_f64 v[2:3], v[2:3], v[28:29], v[30:31]
	v_div_fixup_f64 v[2:3], v[2:3], s[16:17], v[20:21]
	v_fmac_f64_e32 v[50:51], v[10:11], v[2:3]
	v_fma_f64 v[10:11], -v[32:33], v[34:35], 1.0
	v_fmac_f64_e32 v[34:35], v[34:35], v[10:11]
	v_fma_f64 v[10:11], -v[32:33], v[34:35], 1.0
	v_fmac_f64_e32 v[34:35], v[34:35], v[10:11]
	v_div_scale_f64 v[10:11], vcc, v[0:1], v[22:23], v[0:1]
	v_add_f64 v[28:29], v[4:5], 1.0
	v_mul_f64 v[20:21], v[10:11], v[34:35]
	v_div_scale_f64 v[30:31], s[16:17], v[28:29], v[28:29], v[4:5]
	v_fma_f64 v[10:11], -v[32:33], v[20:21], v[10:11]
	v_rcp_f64_e32 v[32:33], v[30:31]
	v_div_fmas_f64 v[10:11], v[10:11], v[34:35], v[20:21]
	v_div_fixup_f64 v[10:11], v[10:11], v[22:23], v[0:1]
	v_fma_f64 v[6:7], -v[10:11], v[2:3], v[6:7]
	v_fma_f64 v[20:21], -v[30:31], v[32:33], 1.0
	v_fmac_f64_e32 v[32:33], v[32:33], v[20:21]
	v_fma_f64 v[20:21], -v[30:31], v[32:33], 1.0
	v_fmac_f64_e32 v[32:33], v[32:33], v[20:21]
	v_div_scale_f64 v[20:21], vcc, v[4:5], v[28:29], v[4:5]
	v_mul_f64 v[22:23], v[20:21], v[32:33]
	v_fma_f64 v[20:21], -v[30:31], v[22:23], v[20:21]
	v_add_f64 v[30:31], v[26:27], 1.0
	v_div_scale_f64 v[34:35], s[16:17], v[30:31], v[30:31], v[26:27]
	v_rcp_f64_e32 v[48:49], v[34:35]
	v_div_fmas_f64 v[20:21], v[20:21], v[32:33], v[22:23]
	v_div_fixup_f64 v[20:21], v[20:21], v[28:29], v[4:5]
	v_fma_f64 v[2:3], -v[10:11], v[50:51], v[2:3]
	v_fma_f64 v[22:23], -v[34:35], v[48:49], 1.0
	v_fmac_f64_e32 v[48:49], v[48:49], v[22:23]
	v_fma_f64 v[22:23], -v[34:35], v[48:49], 1.0
	v_fmac_f64_e32 v[48:49], v[48:49], v[22:23]
	v_div_scale_f64 v[22:23], vcc, v[26:27], v[30:31], v[26:27]
	v_mul_f64 v[28:29], v[22:23], v[48:49]
	v_fma_f64 v[22:23], -v[34:35], v[28:29], v[22:23]
	s_nop 1
	v_div_fmas_f64 v[22:23], v[22:23], v[48:49], v[28:29]
	v_div_fixup_f64 v[22:23], v[22:23], v[30:31], v[26:27]
	v_add_f64 v[30:31], v[22:23], -v[20:21]
	v_add_f64 v[32:33], v[22:23], -v[10:11]
	v_fma_f64 v[28:29], -v[20:21], v[2:3], v[6:7]
	v_mul_f64 v[32:33], v[30:31], v[32:33]
	v_div_scale_f64 v[34:35], s[16:17], v[32:33], v[32:33], v[28:29]
	v_rcp_f64_e32 v[48:49], v[34:35]
	v_fma_f64 v[2:3], v[22:23], v[2:3], -v[6:7]
	v_add_f64 v[6:7], v[20:21], -v[10:11]
	v_mul_f64 v[10:11], v[30:31], v[6:7]
	v_fma_f64 v[52:53], -v[34:35], v[48:49], 1.0
	v_fmac_f64_e32 v[48:49], v[48:49], v[52:53]
	v_fma_f64 v[52:53], -v[34:35], v[48:49], 1.0
	v_div_scale_f64 v[20:21], s[16:17], v[10:11], v[10:11], v[2:3]
	v_fmac_f64_e32 v[48:49], v[48:49], v[52:53]
	v_div_scale_f64 v[52:53], vcc, v[28:29], v[32:33], v[28:29]
	v_rcp_f64_e32 v[22:23], v[20:21]
	v_mul_f64 v[54:55], v[52:53], v[48:49]
	v_fma_f64 v[34:35], -v[34:35], v[54:55], v[52:53]
	s_nop 0
	v_div_fmas_f64 v[6:7], v[34:35], v[48:49], v[54:55]
	v_div_fixup_f64 v[6:7], v[6:7], v[32:33], v[28:29]
	v_fma_f64 v[28:29], -v[20:21], v[22:23], 1.0
	v_fmac_f64_e32 v[22:23], v[22:23], v[28:29]
	v_fma_f64 v[28:29], -v[20:21], v[22:23], 1.0
	v_fmac_f64_e32 v[22:23], v[22:23], v[28:29]
	v_div_scale_f64 v[28:29], vcc, v[2:3], v[10:11], v[2:3]
	v_mul_f64 v[30:31], v[28:29], v[22:23]
	v_fma_f64 v[20:21], -v[20:21], v[30:31], v[28:29]
	s_nop 1
	v_div_fmas_f64 v[20:21], v[20:21], v[22:23], v[30:31]
	v_div_fixup_f64 v[30:31], v[20:21], v[10:11], v[2:3]
	v_add_f64 v[2:3], v[50:51], -v[30:31]
	v_add_f64 v[2:3], v[2:3], -v[6:7]
.LBB0_165:
	s_or_b64 exec, exec, s[14:15]
                                        ; implicit-def: $vgpr48_vgpr49
                                        ; implicit-def: $vgpr10_vgpr11
.LBB0_166:
	s_andn2_saveexec_b64 s[12:13], s[12:13]
	s_cbranch_execz .LBB0_168
; %bb.167:
	s_mov_b32 s14, 0x3e0f0946
	v_mov_b32_e32 v0, 0x140c5ae4
	v_mov_b32_e32 v1, 0x3df6446a
	s_mov_b32 s15, 0xbdbcdb69
	v_fmac_f64_e32 v[0:1], s[14:15], v[48:49]
	v_mov_b32_e32 v2, 0xbf6cfa0d
	v_mov_b32_e32 v3, 0xbe2f0d64
	v_fmac_f64_e32 v[2:3], v[48:49], v[0:1]
	v_mov_b32_e32 v0, 0xbe769d26
	v_mov_b32_e32 v1, 0x3e64300e
	;; [unrolled: 3-line block ×9, first 2 shown]
	s_mov_b32 s14, 0x652b82fe
	v_fmac_f64_e32 v[4:5], v[48:49], v[0:1]
	v_mov_b32_e32 v2, 0x65356efd
	v_mov_b32_e32 v3, 0x3fab0ded
	s_mov_b32 s15, 0xbff71547
	v_fmac_f64_e32 v[2:3], v[48:49], v[4:5]
	v_mul_f64 v[4:5], v[10:11], s[14:15]
	s_mov_b32 s14, 0xfefa39ef
	v_rndne_f64_e32 v[4:5], v[4:5]
	s_mov_b32 s15, 0xbfe62e42
	v_fma_f64 v[6:7], v[4:5], s[14:15], -v[10:11]
	s_mov_b32 s14, 0x3b39803f
	s_mov_b32 s15, 0xbc7abc9e
	v_fmac_f64_e32 v[6:7], s[14:15], v[4:5]
	s_mov_b32 s14, 0x6a5dcb37
	v_mov_b32_e32 v20, 0xfca7ab0c
	v_mov_b32_e32 v21, 0x3e928af3
	s_mov_b32 s15, 0x3e5ade15
	v_fmac_f64_e32 v[20:21], s[14:15], v[6:7]
	v_mov_b32_e32 v22, 0x623fde64
	v_mov_b32_e32 v23, 0x3ec71dee
	v_fmac_f64_e32 v[22:23], v[6:7], v[20:21]
	v_mov_b32_e32 v20, 0x7c89e6b0
	v_mov_b32_e32 v21, 0x3efa0199
	;; [unrolled: 3-line block ×8, first 2 shown]
	v_fmac_f64_e32 v[20:21], v[6:7], v[22:23]
	v_fma_f64 v[20:21], v[6:7], v[20:21], 1.0
	s_mov_b32 s14, 0
	v_fma_f64 v[6:7], v[6:7], v[20:21], 1.0
	v_cvt_i32_f64_e32 v4, v[4:5]
	s_mov_b32 s15, 0x4090cc00
	v_ldexp_f64 v[4:5], v[6:7], v4
	v_cmp_nlt_f64_e32 vcc, s[14:15], v[10:11]
	v_add_f64 v[0:1], v[10:11], v[10:11]
	s_mov_b32 s14, 0x465450e5
	v_cndmask_b32_e32 v7, 0, v5, vcc
	v_cndmask_b32_e32 v6, 0, v4, vcc
	v_fmac_f64_e32 v[6:7], v[0:1], v[2:3]
	v_mov_b32_e32 v0, 0x1fc4da1
	v_mov_b32_e32 v1, 0x3dd38a96
	s_mov_b32 s15, 0xbd9219c1
	v_fmac_f64_e32 v[0:1], s[14:15], v[48:49]
	v_mov_b32_e32 v4, 0x1eb95e12
	v_mov_b32_e32 v5, 0xbe1dcf00
	v_fmac_f64_e32 v[4:5], v[48:49], v[0:1]
	v_mov_b32_e32 v0, 0x7ea1467b
	v_mov_b32_e32 v1, 0x3e6fd70c
	;; [unrolled: 3-line block ×8, first 2 shown]
	s_mov_b32 s14, 0x7e3c759f
	v_fmac_f64_e32 v[0:1], v[48:49], v[4:5]
	v_mov_b32_e32 v4, 0x4cd1b45e
	v_mov_b32_e32 v5, 0x3e02b1b6
	s_mov_b32 s15, 0xbde8d0bc
	v_fmac_f64_e32 v[4:5], s[14:15], v[48:49]
	v_mov_b32_e32 v10, 0x6ff616ed
	v_mov_b32_e32 v11, 0x3e5137a9
	v_fmac_f64_e32 v[10:11], v[48:49], v[4:5]
	v_mov_b32_e32 v4, 0xab4df8c8
	v_mov_b32_e32 v5, 0xbe841b0a
	;; [unrolled: 3-line block ×9, first 2 shown]
	v_fmac_f64_e32 v[4:5], v[48:49], v[20:21]
	v_add_f64 v[10:11], v[2:3], -v[6:7]
	v_fmac_f64_e32 v[2:3], v[0:1], v[10:11]
	v_add_f64 v[10:11], v[4:5], 1.0
	v_mul_f64 v[2:3], v[10:11], v[2:3]
	v_add_f64 v[10:11], v[4:5], -v[0:1]
	v_div_scale_f64 v[20:21], s[14:15], v[10:11], v[10:11], v[2:3]
	v_rcp_f64_e32 v[22:23], v[20:21]
	s_nop 0
	v_fma_f64 v[26:27], -v[20:21], v[22:23], 1.0
	v_fmac_f64_e32 v[22:23], v[22:23], v[26:27]
	v_fma_f64 v[26:27], -v[20:21], v[22:23], 1.0
	v_fmac_f64_e32 v[22:23], v[22:23], v[26:27]
	v_div_scale_f64 v[26:27], vcc, v[2:3], v[10:11], v[2:3]
	v_mul_f64 v[28:29], v[26:27], v[22:23]
	v_fma_f64 v[20:21], -v[20:21], v[28:29], v[26:27]
	v_mov_b64_e32 v[26:27], 0
	s_nop 0
	v_div_fmas_f64 v[20:21], v[20:21], v[22:23], v[28:29]
	v_div_fixup_f64 v[30:31], v[20:21], v[10:11], v[2:3]
	v_add_f64 v[2:3], v[6:7], -v[30:31]
	v_mov_b64_e32 v[6:7], 0
.LBB0_168:
	s_or_b64 exec, exec, s[12:13]
                                        ; implicit-def: $vgpr48_vgpr49
                                        ; implicit-def: $vgpr10_vgpr11
.LBB0_169:
	s_andn2_saveexec_b64 s[10:11], s[10:11]
	s_cbranch_execz .LBB0_173
; %bb.170:
	scratch_load_dword v0, off, s33 offset:932 ; 4-byte Folded Reload
	v_mov_b64_e32 v[6:7], 0
	v_mov_b64_e32 v[2:3], 0
	s_waitcnt vmcnt(0)
	v_cmp_eq_u32_e32 vcc, 0, v0
	v_mov_b64_e32 v[0:1], 0
	s_and_saveexec_b64 s[12:13], vcc
	s_cbranch_execz .LBB0_172
; %bb.171:
	s_mov_b32 s14, 0x3e0f0946
	v_mov_b32_e32 v0, 0x140c5ae4
	v_mov_b32_e32 v1, 0x3df6446a
	s_mov_b32 s15, 0xbdbcdb69
	v_fmac_f64_e32 v[0:1], s[14:15], v[48:49]
	v_mov_b32_e32 v2, 0xbf6cfa0d
	v_mov_b32_e32 v3, 0xbe2f0d64
	v_fmac_f64_e32 v[2:3], v[48:49], v[0:1]
	v_mov_b32_e32 v0, 0xbe769d26
	v_mov_b32_e32 v1, 0x3e64300e
	;; [unrolled: 3-line block ×9, first 2 shown]
	s_mov_b32 s14, 0x652b82fe
	v_fmac_f64_e32 v[2:3], v[48:49], v[0:1]
	v_mov_b32_e32 v0, 0x65356efd
	v_mov_b32_e32 v1, 0x3fab0ded
	s_mov_b32 s15, 0xbff71547
	v_fmac_f64_e32 v[0:1], v[48:49], v[2:3]
	v_mul_f64 v[2:3], v[10:11], s[14:15]
	s_mov_b32 s14, 0xfefa39ef
	v_rndne_f64_e32 v[2:3], v[2:3]
	s_mov_b32 s15, 0xbfe62e42
	v_fma_f64 v[26:27], v[2:3], s[14:15], -v[10:11]
	s_mov_b32 s14, 0x3b39803f
	s_mov_b32 s15, 0xbc7abc9e
	v_fmac_f64_e32 v[26:27], s[14:15], v[2:3]
	s_mov_b32 s14, 0x6a5dcb37
	v_mov_b32_e32 v20, 0xfca7ab0c
	v_mov_b32_e32 v21, 0x3e928af3
	s_mov_b32 s15, 0x3e5ade15
	v_fmac_f64_e32 v[20:21], s[14:15], v[26:27]
	v_mov_b32_e32 v22, 0x623fde64
	v_mov_b32_e32 v23, 0x3ec71dee
	v_fmac_f64_e32 v[22:23], v[26:27], v[20:21]
	v_mov_b32_e32 v20, 0x7c89e6b0
	v_mov_b32_e32 v21, 0x3efa0199
	;; [unrolled: 3-line block ×8, first 2 shown]
	v_fmac_f64_e32 v[20:21], v[26:27], v[22:23]
	v_fma_f64 v[20:21], v[26:27], v[20:21], 1.0
	s_mov_b32 s14, 0
	v_fma_f64 v[20:21], v[26:27], v[20:21], 1.0
	v_cvt_i32_f64_e32 v2, v[2:3]
	s_mov_b32 s15, 0x4090cc00
	v_ldexp_f64 v[2:3], v[20:21], v2
	v_cmp_nlt_f64_e32 vcc, s[14:15], v[10:11]
	v_add_f64 v[4:5], v[10:11], v[10:11]
	s_nop 0
	v_cndmask_b32_e32 v3, 0, v3, vcc
	v_cndmask_b32_e32 v2, 0, v2, vcc
	v_fmac_f64_e32 v[2:3], v[4:5], v[0:1]
	v_add_f64 v[4:5], v[2:3], -v[0:1]
	v_div_scale_f64 v[10:11], s[14:15], v[4:5], v[4:5], v[0:1]
	v_rcp_f64_e32 v[20:21], v[10:11]
	s_nop 0
	v_fma_f64 v[22:23], -v[10:11], v[20:21], 1.0
	v_fmac_f64_e32 v[20:21], v[20:21], v[22:23]
	v_fma_f64 v[22:23], -v[10:11], v[20:21], 1.0
	v_fmac_f64_e32 v[20:21], v[20:21], v[22:23]
	v_div_scale_f64 v[22:23], vcc, v[0:1], v[4:5], v[0:1]
	v_mul_f64 v[26:27], v[22:23], v[20:21]
	v_fma_f64 v[10:11], -v[10:11], v[26:27], v[22:23]
	s_nop 1
	v_div_fmas_f64 v[10:11], v[10:11], v[20:21], v[26:27]
	v_div_fixup_f64 v[0:1], v[10:11], v[4:5], v[0:1]
.LBB0_172:
	s_or_b64 exec, exec, s[12:13]
	v_mov_b64_e32 v[30:31], 0
	v_mov_b64_e32 v[26:27], 0
	;; [unrolled: 1-line block ×3, first 2 shown]
.LBB0_173:
	s_or_b64 exec, exec, s[10:11]
	s_or_b64 exec, exec, s[8:9]
                                        ; implicit-def: $vgpr10_vgpr11
.LBB0_174:
	s_andn2_saveexec_b64 s[6:7], s[6:7]
	s_cbranch_execz .LBB0_299
.LBB0_175:
	scratch_load_dword v0, off, s33 offset:932 ; 4-byte Folded Reload
	v_add_f64 v[48:49], v[10:11], -2.0
                                        ; implicit-def: $vgpr6_vgpr7
                                        ; implicit-def: $vgpr30_vgpr31
                                        ; implicit-def: $vgpr2_vgpr3
                                        ; implicit-def: $vgpr26_vgpr27
                                        ; implicit-def: $vgpr4_vgpr5
	s_waitcnt vmcnt(0)
	v_cmp_lt_i32_e32 vcc, 0, v0
                                        ; implicit-def: $vgpr0_vgpr1
	s_and_saveexec_b64 s[8:9], vcc
	s_xor_b64 s[8:9], exec, s[8:9]
	s_cbranch_execz .LBB0_183
; %bb.176:
	scratch_load_dword v0, off, s33 offset:932 ; 4-byte Folded Reload
                                        ; implicit-def: $vgpr6_vgpr7
                                        ; implicit-def: $vgpr30_vgpr31
                                        ; implicit-def: $vgpr2_vgpr3
                                        ; implicit-def: $vgpr26_vgpr27
                                        ; implicit-def: $vgpr4_vgpr5
	s_waitcnt vmcnt(0)
	v_cmp_lt_i32_e32 vcc, 1, v0
                                        ; implicit-def: $vgpr0_vgpr1
	s_and_saveexec_b64 s[10:11], vcc
	s_xor_b64 s[10:11], exec, s[10:11]
	s_cbranch_execz .LBB0_180
; %bb.177:
	scratch_load_dword v0, off, s33 offset:932 ; 4-byte Folded Reload
	v_mov_b64_e32 v[6:7], 0
	v_mov_b64_e32 v[30:31], 0
	;; [unrolled: 1-line block ×5, first 2 shown]
	s_waitcnt vmcnt(0)
	v_cmp_eq_u32_e32 vcc, 2, v0
	v_mov_b64_e32 v[0:1], 0
	s_and_saveexec_b64 s[12:13], vcc
	s_cbranch_execz .LBB0_179
; %bb.178:
	s_mov_b32 s14, 0xb73671b8
	v_mov_b32_e32 v0, 0x6e2875fe
	v_mov_b32_e32 v1, 0x3d9557fe
	s_mov_b32 s15, 0x3d79742a
	v_fmac_f64_e32 v[0:1], s[14:15], v[48:49]
	v_mov_b32_e32 v2, 0x26273604
	v_mov_b32_e32 v3, 0xbe06824e
	v_fmac_f64_e32 v[2:3], v[48:49], v[0:1]
	v_mov_b32_e32 v0, 0xef7e01c8
	v_mov_b32_e32 v1, 0x3e50d064
	;; [unrolled: 3-line block ×8, first 2 shown]
	s_mov_b32 s14, 0x2a6ec53b
	v_fmac_f64_e32 v[0:1], v[48:49], v[2:3]
	v_mov_b32_e32 v2, 0x690fd1e2
	v_mov_b32_e32 v3, 0xbe36fd7c
	s_mov_b32 s15, 0x3e07e9c4
	v_fmac_f64_e32 v[2:3], s[14:15], v[48:49]
	v_mov_b32_e32 v4, 0x2e3bd51f
	v_mov_b32_e32 v5, 0xbe721b45
	v_fmac_f64_e32 v[4:5], v[48:49], v[2:3]
	v_mov_b32_e32 v2, 0xbfaf5e9e
	v_mov_b32_e32 v3, 0x3eb9349d
	;; [unrolled: 3-line block ×7, first 2 shown]
	s_mov_b32 s14, 0xee3dd1b9
	v_fmac_f64_e32 v[4:5], v[48:49], v[2:3]
	v_mov_b32_e32 v2, 0x1423d8c5
	v_mov_b32_e32 v3, 0x3e2f03c0
	s_mov_b32 s15, 0xbdf35823
	v_fmac_f64_e32 v[2:3], s[14:15], v[48:49]
	v_mov_b32_e32 v6, 0xf792de63
	v_mov_b32_e32 v7, 0x3e685aaa
	v_fmac_f64_e32 v[6:7], v[48:49], v[2:3]
	v_mov_b32_e32 v2, 0x660cbe45
	v_mov_b32_e32 v3, 0xbe82ebc1
	;; [unrolled: 3-line block ×6, first 2 shown]
	s_mov_b32 s14, 0xe345a90d
	v_fmac_f64_e32 v[20:21], v[48:49], v[6:7]
	v_mov_b32_e32 v2, 0x48183c4
	v_mov_b32_e32 v3, 0xbfea6404
	;; [unrolled: 1-line block ×4, first 2 shown]
	s_mov_b32 s15, 0xbde458d7
	v_fmac_f64_e32 v[2:3], v[48:49], v[20:21]
	v_fmac_f64_e32 v[6:7], s[14:15], v[48:49]
	v_mov_b32_e32 v20, 0xdcd5a1c0
	v_mov_b32_e32 v21, 0xbe54abc9
	v_fmac_f64_e32 v[20:21], v[48:49], v[6:7]
	v_mov_b32_e32 v6, 0x7a80ab49
	v_mov_b32_e32 v7, 0x3e89e0b7
	;; [unrolled: 3-line block ×9, first 2 shown]
	s_mov_b32 s14, 0x652b82fe
	v_fmac_f64_e32 v[20:21], v[48:49], v[6:7]
	v_mov_b32_e32 v6, 0x1488161d
	v_mov_b32_e32 v7, 0x3fab1b52
	s_mov_b32 s15, 0xbff71547
	v_fmac_f64_e32 v[6:7], v[48:49], v[20:21]
	v_mul_f64 v[20:21], v[10:11], s[14:15]
	s_mov_b32 s14, 0xfefa39ef
	v_rndne_f64_e32 v[26:27], v[20:21]
	s_mov_b32 s15, 0xbfe62e42
	v_fma_f64 v[30:31], v[26:27], s[14:15], -v[10:11]
	s_mov_b32 s14, 0x3b39803f
	s_mov_b32 s15, 0xbc7abc9e
	v_fmac_f64_e32 v[30:31], s[14:15], v[26:27]
	s_mov_b32 s14, 0x6a5dcb37
	v_mov_b32_e32 v20, 0xfca7ab0c
	v_mov_b32_e32 v21, 0x3e928af3
	s_mov_b32 s15, 0x3e5ade15
	v_fmac_f64_e32 v[20:21], s[14:15], v[30:31]
	v_mov_b32_e32 v22, 0x623fde64
	v_mov_b32_e32 v23, 0x3ec71dee
	v_fmac_f64_e32 v[22:23], v[30:31], v[20:21]
	v_mov_b32_e32 v20, 0x7c89e6b0
	v_mov_b32_e32 v21, 0x3efa0199
	;; [unrolled: 3-line block ×8, first 2 shown]
	v_fmac_f64_e32 v[20:21], v[30:31], v[22:23]
	v_fma_f64 v[20:21], v[30:31], v[20:21], 1.0
	s_mov_b32 s14, 0
	v_fma_f64 v[20:21], v[30:31], v[20:21], 1.0
	v_cvt_i32_f64_e32 v22, v[26:27]
	s_mov_b32 s15, 0x4090cc00
	v_ldexp_f64 v[20:21], v[20:21], v22
	v_cmp_nlt_f64_e32 vcc, s[14:15], v[10:11]
	v_add_f64 v[10:11], v[10:11], v[10:11]
	s_mov_b32 s14, 0
	v_cndmask_b32_e32 v51, 0, v21, vcc
	v_cndmask_b32_e32 v50, 0, v20, vcc
	v_fma_f64 v[20:21], v[10:11], v[6:7], v[50:51]
	s_mov_b32 s15, 0x40080000
	v_div_scale_f64 v[22:23], s[16:17], s[14:15], s[14:15], v[20:21]
	v_rcp_f64_e32 v[28:29], v[22:23]
	v_mov_b32_e32 v26, 0xce70067f
	v_mov_b32_e32 v27, 0x40133fd7
	v_fmac_f64_e32 v[26:27], v[48:49], v[2:3]
	v_fma_f64 v[2:3], -v[22:23], v[28:29], 1.0
	v_fmac_f64_e32 v[28:29], v[28:29], v[2:3]
	v_fma_f64 v[2:3], -v[22:23], v[28:29], 1.0
	v_fmac_f64_e32 v[28:29], v[28:29], v[2:3]
	v_div_scale_f64 v[2:3], vcc, v[20:21], s[14:15], v[20:21]
	v_mul_f64 v[30:31], v[2:3], v[28:29]
	v_fma_f64 v[2:3], -v[22:23], v[30:31], v[2:3]
	v_add_f64 v[22:23], v[0:1], 1.0
	v_div_scale_f64 v[32:33], s[16:17], v[22:23], v[22:23], v[0:1]
	v_rcp_f64_e32 v[34:35], v[32:33]
	v_div_fmas_f64 v[2:3], v[2:3], v[28:29], v[30:31]
	v_div_fixup_f64 v[2:3], v[2:3], s[14:15], v[20:21]
	v_fmac_f64_e32 v[50:51], v[10:11], v[2:3]
	v_fma_f64 v[10:11], -v[32:33], v[34:35], 1.0
	v_fmac_f64_e32 v[34:35], v[34:35], v[10:11]
	v_fma_f64 v[10:11], -v[32:33], v[34:35], 1.0
	v_fmac_f64_e32 v[34:35], v[34:35], v[10:11]
	v_div_scale_f64 v[10:11], vcc, v[0:1], v[22:23], v[0:1]
	v_add_f64 v[28:29], v[4:5], 1.0
	v_mul_f64 v[20:21], v[10:11], v[34:35]
	v_div_scale_f64 v[30:31], s[14:15], v[28:29], v[28:29], v[4:5]
	v_fma_f64 v[10:11], -v[32:33], v[20:21], v[10:11]
	v_rcp_f64_e32 v[32:33], v[30:31]
	v_div_fmas_f64 v[10:11], v[10:11], v[34:35], v[20:21]
	v_div_fixup_f64 v[10:11], v[10:11], v[22:23], v[0:1]
	v_fma_f64 v[6:7], -v[10:11], v[2:3], v[6:7]
	v_fma_f64 v[20:21], -v[30:31], v[32:33], 1.0
	v_fmac_f64_e32 v[32:33], v[32:33], v[20:21]
	v_fma_f64 v[20:21], -v[30:31], v[32:33], 1.0
	v_fmac_f64_e32 v[32:33], v[32:33], v[20:21]
	v_div_scale_f64 v[20:21], vcc, v[4:5], v[28:29], v[4:5]
	v_mul_f64 v[22:23], v[20:21], v[32:33]
	v_fma_f64 v[20:21], -v[30:31], v[22:23], v[20:21]
	v_add_f64 v[30:31], v[26:27], 1.0
	v_div_scale_f64 v[34:35], s[14:15], v[30:31], v[30:31], v[26:27]
	v_rcp_f64_e32 v[48:49], v[34:35]
	v_div_fmas_f64 v[20:21], v[20:21], v[32:33], v[22:23]
	v_div_fixup_f64 v[20:21], v[20:21], v[28:29], v[4:5]
	v_fma_f64 v[2:3], -v[10:11], v[50:51], v[2:3]
	v_fma_f64 v[22:23], -v[34:35], v[48:49], 1.0
	v_fmac_f64_e32 v[48:49], v[48:49], v[22:23]
	v_fma_f64 v[22:23], -v[34:35], v[48:49], 1.0
	v_fmac_f64_e32 v[48:49], v[48:49], v[22:23]
	v_div_scale_f64 v[22:23], vcc, v[26:27], v[30:31], v[26:27]
	v_mul_f64 v[28:29], v[22:23], v[48:49]
	v_fma_f64 v[22:23], -v[34:35], v[28:29], v[22:23]
	s_nop 1
	v_div_fmas_f64 v[22:23], v[22:23], v[48:49], v[28:29]
	v_div_fixup_f64 v[22:23], v[22:23], v[30:31], v[26:27]
	v_add_f64 v[30:31], v[22:23], -v[20:21]
	v_add_f64 v[32:33], v[22:23], -v[10:11]
	v_fma_f64 v[28:29], -v[20:21], v[2:3], v[6:7]
	v_mul_f64 v[32:33], v[30:31], v[32:33]
	v_div_scale_f64 v[34:35], s[14:15], v[32:33], v[32:33], v[28:29]
	v_rcp_f64_e32 v[48:49], v[34:35]
	v_fma_f64 v[2:3], v[22:23], v[2:3], -v[6:7]
	v_add_f64 v[6:7], v[20:21], -v[10:11]
	v_mul_f64 v[10:11], v[30:31], v[6:7]
	v_fma_f64 v[52:53], -v[34:35], v[48:49], 1.0
	v_fmac_f64_e32 v[48:49], v[48:49], v[52:53]
	v_fma_f64 v[52:53], -v[34:35], v[48:49], 1.0
	v_div_scale_f64 v[20:21], s[14:15], v[10:11], v[10:11], v[2:3]
	v_fmac_f64_e32 v[48:49], v[48:49], v[52:53]
	v_div_scale_f64 v[52:53], vcc, v[28:29], v[32:33], v[28:29]
	v_rcp_f64_e32 v[22:23], v[20:21]
	v_mul_f64 v[54:55], v[52:53], v[48:49]
	v_fma_f64 v[34:35], -v[34:35], v[54:55], v[52:53]
	s_nop 0
	v_div_fmas_f64 v[6:7], v[34:35], v[48:49], v[54:55]
	v_div_fixup_f64 v[6:7], v[6:7], v[32:33], v[28:29]
	v_fma_f64 v[28:29], -v[20:21], v[22:23], 1.0
	v_fmac_f64_e32 v[22:23], v[22:23], v[28:29]
	v_fma_f64 v[28:29], -v[20:21], v[22:23], 1.0
	v_fmac_f64_e32 v[22:23], v[22:23], v[28:29]
	v_div_scale_f64 v[28:29], vcc, v[2:3], v[10:11], v[2:3]
	v_mul_f64 v[30:31], v[28:29], v[22:23]
	v_fma_f64 v[20:21], -v[20:21], v[30:31], v[28:29]
	s_nop 1
	v_div_fmas_f64 v[20:21], v[20:21], v[22:23], v[30:31]
	v_div_fixup_f64 v[30:31], v[20:21], v[10:11], v[2:3]
	v_add_f64 v[2:3], v[50:51], -v[30:31]
	v_add_f64 v[2:3], v[2:3], -v[6:7]
.LBB0_179:
	s_or_b64 exec, exec, s[12:13]
                                        ; implicit-def: $vgpr48_vgpr49
                                        ; implicit-def: $vgpr10_vgpr11
.LBB0_180:
	s_andn2_saveexec_b64 s[10:11], s[10:11]
	s_cbranch_execz .LBB0_182
; %bb.181:
	s_mov_b32 s12, 0x2e6d26f8
	v_mov_b32_e32 v0, 0xa9d197ff
	v_mov_b32_e32 v1, 0x3e20dad1
	s_mov_b32 s13, 0xbde63969
	v_fmac_f64_e32 v[0:1], s[12:13], v[48:49]
	v_mov_b32_e32 v2, 0xc75966b
	v_mov_b32_e32 v3, 0xbe5700d5
	v_fmac_f64_e32 v[2:3], v[48:49], v[0:1]
	v_mov_b32_e32 v0, 0x9166491
	v_mov_b32_e32 v1, 0x3e8d2781
	;; [unrolled: 3-line block ×9, first 2 shown]
	s_mov_b32 s12, 0x652b82fe
	v_fmac_f64_e32 v[4:5], v[48:49], v[0:1]
	v_mov_b32_e32 v2, 0x7ada65b7
	v_mov_b32_e32 v3, 0x3fbd9ea8
	s_mov_b32 s13, 0xbff71547
	v_fmac_f64_e32 v[2:3], v[48:49], v[4:5]
	v_mul_f64 v[4:5], v[10:11], s[12:13]
	s_mov_b32 s12, 0xfefa39ef
	v_rndne_f64_e32 v[4:5], v[4:5]
	s_mov_b32 s13, 0xbfe62e42
	v_fma_f64 v[6:7], v[4:5], s[12:13], -v[10:11]
	s_mov_b32 s12, 0x3b39803f
	s_mov_b32 s13, 0xbc7abc9e
	v_fmac_f64_e32 v[6:7], s[12:13], v[4:5]
	s_mov_b32 s12, 0x6a5dcb37
	v_mov_b32_e32 v20, 0xfca7ab0c
	v_mov_b32_e32 v21, 0x3e928af3
	s_mov_b32 s13, 0x3e5ade15
	v_fmac_f64_e32 v[20:21], s[12:13], v[6:7]
	v_mov_b32_e32 v22, 0x623fde64
	v_mov_b32_e32 v23, 0x3ec71dee
	v_fmac_f64_e32 v[22:23], v[6:7], v[20:21]
	v_mov_b32_e32 v20, 0x7c89e6b0
	v_mov_b32_e32 v21, 0x3efa0199
	;; [unrolled: 3-line block ×8, first 2 shown]
	v_fmac_f64_e32 v[20:21], v[6:7], v[22:23]
	v_fma_f64 v[20:21], v[6:7], v[20:21], 1.0
	s_mov_b32 s12, 0
	v_fma_f64 v[6:7], v[6:7], v[20:21], 1.0
	v_cvt_i32_f64_e32 v4, v[4:5]
	s_mov_b32 s13, 0x4090cc00
	v_ldexp_f64 v[4:5], v[6:7], v4
	v_cmp_nlt_f64_e32 vcc, s[12:13], v[10:11]
	v_add_f64 v[0:1], v[10:11], v[10:11]
	s_mov_b32 s12, 0xed19fefa
	v_cndmask_b32_e32 v7, 0, v5, vcc
	v_cndmask_b32_e32 v6, 0, v4, vcc
	v_fmac_f64_e32 v[6:7], v[0:1], v[2:3]
	v_mov_b32_e32 v0, 0xdef0c7e3
	v_mov_b32_e32 v1, 0x3dd74b2a
	s_mov_b32 s13, 0xbd9c0266
	v_fmac_f64_e32 v[0:1], s[12:13], v[48:49]
	v_mov_b32_e32 v4, 0x1125f910
	v_mov_b32_e32 v5, 0xbe01b3ee
	v_fmac_f64_e32 v[4:5], v[48:49], v[0:1]
	v_mov_b32_e32 v0, 0xfe46
	v_mov_b32_e32 v1, 0xbdfa6ea4
	;; [unrolled: 3-line block ×8, first 2 shown]
	s_mov_b32 s12, 0x6e8b0aa0
	v_fmac_f64_e32 v[10:11], v[48:49], v[4:5]
	v_mov_b32_e32 v0, 0x1c218ec3
	v_mov_b32_e32 v1, 0x3fb63916
	;; [unrolled: 1-line block ×4, first 2 shown]
	s_mov_b32 s13, 0x3de3f964
	v_fmac_f64_e32 v[0:1], v[48:49], v[10:11]
	v_fmac_f64_e32 v[4:5], s[12:13], v[48:49]
	v_mov_b32_e32 v10, 0xdbd3a56
	v_mov_b32_e32 v11, 0xbe542cbd
	v_fmac_f64_e32 v[10:11], v[48:49], v[4:5]
	v_mov_b32_e32 v4, 0x9cefcdd4
	v_mov_b32_e32 v5, 0xbe8729ef
	;; [unrolled: 3-line block ×9, first 2 shown]
	v_fmac_f64_e32 v[4:5], v[48:49], v[20:21]
	v_add_f64 v[10:11], v[2:3], -v[6:7]
	v_fmac_f64_e32 v[2:3], v[0:1], v[10:11]
	v_add_f64 v[10:11], v[4:5], 1.0
	v_mul_f64 v[2:3], v[10:11], v[2:3]
	v_add_f64 v[10:11], v[4:5], -v[0:1]
	v_div_scale_f64 v[20:21], s[12:13], v[10:11], v[10:11], v[2:3]
	v_rcp_f64_e32 v[22:23], v[20:21]
	s_nop 0
	v_fma_f64 v[26:27], -v[20:21], v[22:23], 1.0
	v_fmac_f64_e32 v[22:23], v[22:23], v[26:27]
	v_fma_f64 v[26:27], -v[20:21], v[22:23], 1.0
	v_fmac_f64_e32 v[22:23], v[22:23], v[26:27]
	v_div_scale_f64 v[26:27], vcc, v[2:3], v[10:11], v[2:3]
	v_mul_f64 v[28:29], v[26:27], v[22:23]
	v_fma_f64 v[20:21], -v[20:21], v[28:29], v[26:27]
	v_mov_b64_e32 v[26:27], 0
	s_nop 0
	v_div_fmas_f64 v[20:21], v[20:21], v[22:23], v[28:29]
	v_div_fixup_f64 v[30:31], v[20:21], v[10:11], v[2:3]
	v_add_f64 v[2:3], v[6:7], -v[30:31]
	v_mov_b64_e32 v[6:7], 0
.LBB0_182:
	s_or_b64 exec, exec, s[10:11]
                                        ; implicit-def: $vgpr48_vgpr49
                                        ; implicit-def: $vgpr10_vgpr11
.LBB0_183:
	s_andn2_saveexec_b64 s[8:9], s[8:9]
	s_cbranch_execz .LBB0_187
; %bb.184:
	scratch_load_dword v0, off, s33 offset:932 ; 4-byte Folded Reload
	v_mov_b64_e32 v[6:7], 0
	v_mov_b64_e32 v[2:3], 0
	s_waitcnt vmcnt(0)
	v_cmp_eq_u32_e32 vcc, 0, v0
	v_mov_b64_e32 v[0:1], 0
	s_and_saveexec_b64 s[10:11], vcc
	s_cbranch_execz .LBB0_186
; %bb.185:
	s_mov_b32 s12, 0x2e6d26f8
	v_mov_b32_e32 v0, 0xa9d197ff
	v_mov_b32_e32 v1, 0x3e20dad1
	s_mov_b32 s13, 0xbde63969
	v_fmac_f64_e32 v[0:1], s[12:13], v[48:49]
	v_mov_b32_e32 v2, 0xc75966b
	v_mov_b32_e32 v3, 0xbe5700d5
	v_fmac_f64_e32 v[2:3], v[48:49], v[0:1]
	v_mov_b32_e32 v0, 0x9166491
	v_mov_b32_e32 v1, 0x3e8d2781
	;; [unrolled: 3-line block ×9, first 2 shown]
	s_mov_b32 s12, 0x652b82fe
	v_fmac_f64_e32 v[2:3], v[48:49], v[0:1]
	v_mov_b32_e32 v0, 0x7ada65b7
	v_mov_b32_e32 v1, 0x3fbd9ea8
	s_mov_b32 s13, 0xbff71547
	v_fmac_f64_e32 v[0:1], v[48:49], v[2:3]
	v_mul_f64 v[2:3], v[10:11], s[12:13]
	s_mov_b32 s12, 0xfefa39ef
	v_rndne_f64_e32 v[2:3], v[2:3]
	s_mov_b32 s13, 0xbfe62e42
	v_fma_f64 v[26:27], v[2:3], s[12:13], -v[10:11]
	s_mov_b32 s12, 0x3b39803f
	s_mov_b32 s13, 0xbc7abc9e
	v_fmac_f64_e32 v[26:27], s[12:13], v[2:3]
	s_mov_b32 s12, 0x6a5dcb37
	v_mov_b32_e32 v20, 0xfca7ab0c
	v_mov_b32_e32 v21, 0x3e928af3
	s_mov_b32 s13, 0x3e5ade15
	v_fmac_f64_e32 v[20:21], s[12:13], v[26:27]
	v_mov_b32_e32 v22, 0x623fde64
	v_mov_b32_e32 v23, 0x3ec71dee
	v_fmac_f64_e32 v[22:23], v[26:27], v[20:21]
	v_mov_b32_e32 v20, 0x7c89e6b0
	v_mov_b32_e32 v21, 0x3efa0199
	;; [unrolled: 3-line block ×8, first 2 shown]
	v_fmac_f64_e32 v[20:21], v[26:27], v[22:23]
	v_fma_f64 v[20:21], v[26:27], v[20:21], 1.0
	s_mov_b32 s12, 0
	v_fma_f64 v[20:21], v[26:27], v[20:21], 1.0
	v_cvt_i32_f64_e32 v2, v[2:3]
	s_mov_b32 s13, 0x4090cc00
	v_ldexp_f64 v[2:3], v[20:21], v2
	v_cmp_nlt_f64_e32 vcc, s[12:13], v[10:11]
	v_add_f64 v[4:5], v[10:11], v[10:11]
	s_nop 0
	v_cndmask_b32_e32 v3, 0, v3, vcc
	v_cndmask_b32_e32 v2, 0, v2, vcc
	v_fmac_f64_e32 v[2:3], v[4:5], v[0:1]
	v_add_f64 v[4:5], v[2:3], -v[0:1]
	v_div_scale_f64 v[10:11], s[12:13], v[4:5], v[4:5], v[0:1]
	v_rcp_f64_e32 v[20:21], v[10:11]
	s_nop 0
	v_fma_f64 v[22:23], -v[10:11], v[20:21], 1.0
	v_fmac_f64_e32 v[20:21], v[20:21], v[22:23]
	v_fma_f64 v[22:23], -v[10:11], v[20:21], 1.0
	v_fmac_f64_e32 v[20:21], v[20:21], v[22:23]
	v_div_scale_f64 v[22:23], vcc, v[0:1], v[4:5], v[0:1]
	v_mul_f64 v[26:27], v[22:23], v[20:21]
	v_fma_f64 v[10:11], -v[10:11], v[26:27], v[22:23]
	s_nop 1
	v_div_fmas_f64 v[10:11], v[10:11], v[20:21], v[26:27]
	v_div_fixup_f64 v[0:1], v[10:11], v[4:5], v[0:1]
.LBB0_186:
	s_or_b64 exec, exec, s[10:11]
	v_mov_b64_e32 v[30:31], 0
	v_mov_b64_e32 v[26:27], 0
	;; [unrolled: 1-line block ×3, first 2 shown]
.LBB0_187:
	s_or_b64 exec, exec, s[8:9]
	s_or_b64 exec, exec, s[6:7]
                                        ; implicit-def: $vgpr10_vgpr11
.LBB0_188:
	s_andn2_saveexec_b64 s[4:5], s[4:5]
	s_cbranch_execz .LBB0_300
.LBB0_189:
	scratch_load_dword v0, off, s33 offset:932 ; 4-byte Folded Reload
                                        ; implicit-def: $vgpr6_vgpr7
                                        ; implicit-def: $vgpr30_vgpr31
                                        ; implicit-def: $vgpr2_vgpr3
                                        ; implicit-def: $vgpr26_vgpr27
                                        ; implicit-def: $vgpr4_vgpr5
	s_waitcnt vmcnt(0)
	v_cmp_lt_i32_e32 vcc, 0, v0
                                        ; implicit-def: $vgpr0_vgpr1
	s_and_saveexec_b64 s[6:7], vcc
	s_xor_b64 s[6:7], exec, s[6:7]
	s_cbranch_execz .LBB0_197
; %bb.190:
	scratch_load_dword v0, off, s33 offset:932 ; 4-byte Folded Reload
                                        ; implicit-def: $vgpr6_vgpr7
                                        ; implicit-def: $vgpr30_vgpr31
                                        ; implicit-def: $vgpr2_vgpr3
                                        ; implicit-def: $vgpr26_vgpr27
                                        ; implicit-def: $vgpr4_vgpr5
	s_waitcnt vmcnt(0)
	v_cmp_lt_i32_e32 vcc, 1, v0
                                        ; implicit-def: $vgpr0_vgpr1
	s_and_saveexec_b64 s[8:9], vcc
	s_xor_b64 s[8:9], exec, s[8:9]
	s_cbranch_execz .LBB0_194
; %bb.191:
	scratch_load_dword v0, off, s33 offset:932 ; 4-byte Folded Reload
	v_mov_b64_e32 v[6:7], 0
	v_mov_b64_e32 v[30:31], 0
	;; [unrolled: 1-line block ×5, first 2 shown]
	s_waitcnt vmcnt(0)
	v_cmp_eq_u32_e32 vcc, 2, v0
	v_mov_b64_e32 v[0:1], 0
	s_and_saveexec_b64 s[10:11], vcc
	s_cbranch_execz .LBB0_193
; %bb.192:
	s_mov_b32 s12, 0x4c050a83
	v_mov_b32_e32 v0, 0xba084876
	v_mov_b32_e32 v1, 0x3e59c8c3
	s_mov_b32 s13, 0xbe0187a6
	v_fmac_f64_e32 v[0:1], s[12:13], v[10:11]
	v_mov_b32_e32 v2, 0xe61e163f
	v_mov_b32_e32 v3, 0xbea0d040
	v_fmac_f64_e32 v[2:3], v[10:11], v[0:1]
	v_mov_b32_e32 v0, 0x36d0827f
	v_mov_b32_e32 v1, 0x3edfce17
	;; [unrolled: 3-line block ×6, first 2 shown]
	s_mov_b32 s12, 0xa133a864
	v_fmac_f64_e32 v[0:1], v[10:11], v[2:3]
	v_mov_b32_e32 v2, 0xc3c042fd
	v_mov_b32_e32 v3, 0x3e74cb06
	s_mov_b32 s13, 0xbe4bd764
	v_fmac_f64_e32 v[2:3], s[12:13], v[10:11]
	v_mov_b32_e32 v4, 0xf35f5185
	v_mov_b32_e32 v5, 0x3eba2d20
	v_fmac_f64_e32 v[4:5], v[10:11], v[2:3]
	v_mov_b32_e32 v2, 0x270e6f4
	v_mov_b32_e32 v3, 0xbef092ad
	;; [unrolled: 3-line block ×5, first 2 shown]
	s_mov_b32 s12, 0xed1b5c22
	v_fmac_f64_e32 v[6:7], v[10:11], v[2:3]
	v_mov_b32_e32 v4, 0xa78fc4a5
	v_mov_b32_e32 v5, 0x3fe8dbbc
	;; [unrolled: 1-line block ×4, first 2 shown]
	s_mov_b32 s13, 0xbe43f0ae
	v_fmac_f64_e32 v[4:5], v[10:11], v[6:7]
	v_fmac_f64_e32 v[2:3], s[12:13], v[10:11]
	v_mov_b32_e32 v6, 0x5d760579
	v_mov_b32_e32 v7, 0xbec5087b
	v_fmac_f64_e32 v[6:7], v[10:11], v[2:3]
	v_mov_b32_e32 v2, 0xb111e0e6
	v_mov_b32_e32 v3, 0xbedebb9b
	;; [unrolled: 3-line block ×5, first 2 shown]
	s_mov_b32 s12, 0xa4869262
	v_fmac_f64_e32 v[6:7], v[10:11], v[2:3]
	v_mov_b32_e32 v2, 0x8baa42cc
	v_mov_b32_e32 v3, 0x3eb26142
	s_mov_b32 s13, 0xbe746cf1
	v_fmac_f64_e32 v[2:3], s[12:13], v[10:11]
	v_mov_b32_e32 v20, 0x5d5c507f
	v_mov_b32_e32 v21, 0xbee5b2a4
	v_fmac_f64_e32 v[20:21], v[10:11], v[2:3]
	v_mov_b32_e32 v2, 0x6aa26142
	v_mov_b32_e32 v3, 0x3f156643
	;; [unrolled: 3-line block ×7, first 2 shown]
	s_mov_b32 s12, 0x652b82fe
	v_fmac_f64_e32 v[20:21], v[10:11], v[2:3]
	v_mov_b32_e32 v2, 0x999997a1
	v_mov_b32_e32 v3, 0x3fc99999
	s_mov_b32 s13, 0xbff71547
	v_fmac_f64_e32 v[2:3], v[10:11], v[20:21]
	v_mul_f64 v[20:21], v[10:11], s[12:13]
	s_mov_b32 s12, 0xfefa39ef
	v_rndne_f64_e32 v[26:27], v[20:21]
	s_mov_b32 s13, 0xbfe62e42
	v_fma_f64 v[30:31], v[26:27], s[12:13], -v[10:11]
	s_mov_b32 s12, 0x3b39803f
	s_mov_b32 s13, 0xbc7abc9e
	v_fmac_f64_e32 v[30:31], s[12:13], v[26:27]
	s_mov_b32 s12, 0x6a5dcb37
	v_mov_b32_e32 v20, 0xfca7ab0c
	v_mov_b32_e32 v21, 0x3e928af3
	s_mov_b32 s13, 0x3e5ade15
	v_fmac_f64_e32 v[20:21], s[12:13], v[30:31]
	v_mov_b32_e32 v22, 0x623fde64
	v_mov_b32_e32 v23, 0x3ec71dee
	v_fmac_f64_e32 v[22:23], v[30:31], v[20:21]
	v_mov_b32_e32 v20, 0x7c89e6b0
	v_mov_b32_e32 v21, 0x3efa0199
	;; [unrolled: 3-line block ×8, first 2 shown]
	v_fmac_f64_e32 v[20:21], v[30:31], v[22:23]
	v_fma_f64 v[20:21], v[30:31], v[20:21], 1.0
	s_mov_b32 s12, 0
	v_fma_f64 v[20:21], v[30:31], v[20:21], 1.0
	v_cvt_i32_f64_e32 v22, v[26:27]
	s_mov_b32 s13, 0x4090cc00
	v_ldexp_f64 v[20:21], v[20:21], v22
	v_cmp_nlt_f64_e32 vcc, s[12:13], v[10:11]
	s_mov_b32 s12, 0
	s_mov_b32 s13, 0x40080000
	v_cndmask_b32_e32 v49, 0, v21, vcc
	v_cndmask_b32_e32 v48, 0, v20, vcc
	v_add_f64 v[20:21], v[10:11], v[10:11]
	v_fma_f64 v[22:23], v[20:21], v[2:3], v[48:49]
	v_div_scale_f64 v[28:29], s[14:15], s[12:13], s[12:13], v[22:23]
	v_rcp_f64_e32 v[30:31], v[28:29]
	v_mov_b32_e32 v26, 0xf83a3c3e
	v_mov_b32_e32 v27, 0x401aa6b4
	v_fmac_f64_e32 v[26:27], v[10:11], v[6:7]
	v_fma_f64 v[6:7], -v[28:29], v[30:31], 1.0
	v_fmac_f64_e32 v[30:31], v[30:31], v[6:7]
	v_fma_f64 v[6:7], -v[28:29], v[30:31], 1.0
	v_fmac_f64_e32 v[30:31], v[30:31], v[6:7]
	v_div_scale_f64 v[6:7], vcc, v[22:23], s[12:13], v[22:23]
	v_mul_f64 v[10:11], v[6:7], v[30:31]
	v_fma_f64 v[6:7], -v[28:29], v[10:11], v[6:7]
	v_add_f64 v[28:29], v[0:1], 1.0
	v_div_scale_f64 v[32:33], s[14:15], v[28:29], v[28:29], v[0:1]
	v_rcp_f64_e32 v[34:35], v[32:33]
	v_div_fmas_f64 v[6:7], v[6:7], v[30:31], v[10:11]
	v_div_fixup_f64 v[6:7], v[6:7], s[12:13], v[22:23]
	v_add_f64 v[22:23], v[4:5], 1.0
	v_fma_f64 v[10:11], -v[32:33], v[34:35], 1.0
	v_fmac_f64_e32 v[34:35], v[34:35], v[10:11]
	v_fma_f64 v[10:11], -v[32:33], v[34:35], 1.0
	v_fmac_f64_e32 v[34:35], v[34:35], v[10:11]
	v_div_scale_f64 v[10:11], vcc, v[0:1], v[28:29], v[0:1]
	v_fmac_f64_e32 v[48:49], v[20:21], v[6:7]
	v_mul_f64 v[20:21], v[10:11], v[34:35]
	v_div_scale_f64 v[30:31], s[12:13], v[22:23], v[22:23], v[4:5]
	v_fma_f64 v[10:11], -v[32:33], v[20:21], v[10:11]
	v_rcp_f64_e32 v[32:33], v[30:31]
	v_div_fmas_f64 v[10:11], v[10:11], v[34:35], v[20:21]
	v_div_fixup_f64 v[10:11], v[10:11], v[28:29], v[0:1]
	v_fma_f64 v[2:3], -v[10:11], v[6:7], v[2:3]
	v_fma_f64 v[20:21], -v[30:31], v[32:33], 1.0
	v_fmac_f64_e32 v[32:33], v[32:33], v[20:21]
	v_fma_f64 v[20:21], -v[30:31], v[32:33], 1.0
	v_fmac_f64_e32 v[32:33], v[32:33], v[20:21]
	v_div_scale_f64 v[20:21], vcc, v[4:5], v[22:23], v[4:5]
	v_mul_f64 v[28:29], v[20:21], v[32:33]
	v_fma_f64 v[20:21], -v[30:31], v[28:29], v[20:21]
	v_add_f64 v[30:31], v[26:27], 1.0
	v_div_scale_f64 v[34:35], s[12:13], v[30:31], v[30:31], v[26:27]
	v_rcp_f64_e32 v[50:51], v[34:35]
	v_div_fmas_f64 v[20:21], v[20:21], v[32:33], v[28:29]
	v_div_fixup_f64 v[20:21], v[20:21], v[22:23], v[4:5]
	v_fma_f64 v[6:7], -v[10:11], v[48:49], v[6:7]
	v_fma_f64 v[22:23], -v[34:35], v[50:51], 1.0
	v_fmac_f64_e32 v[50:51], v[50:51], v[22:23]
	v_fma_f64 v[22:23], -v[34:35], v[50:51], 1.0
	v_fmac_f64_e32 v[50:51], v[50:51], v[22:23]
	v_div_scale_f64 v[22:23], vcc, v[26:27], v[30:31], v[26:27]
	v_mul_f64 v[28:29], v[22:23], v[50:51]
	v_fma_f64 v[22:23], -v[34:35], v[28:29], v[22:23]
	s_nop 1
	v_div_fmas_f64 v[22:23], v[22:23], v[50:51], v[28:29]
	v_div_fixup_f64 v[22:23], v[22:23], v[30:31], v[26:27]
	v_add_f64 v[30:31], v[22:23], -v[20:21]
	v_add_f64 v[32:33], v[22:23], -v[10:11]
	v_fma_f64 v[28:29], -v[20:21], v[6:7], v[2:3]
	v_mul_f64 v[32:33], v[30:31], v[32:33]
	v_div_scale_f64 v[34:35], s[12:13], v[32:33], v[32:33], v[28:29]
	v_rcp_f64_e32 v[50:51], v[34:35]
	v_fma_f64 v[2:3], v[22:23], v[6:7], -v[2:3]
	v_add_f64 v[6:7], v[20:21], -v[10:11]
	v_mul_f64 v[10:11], v[30:31], v[6:7]
	v_fma_f64 v[52:53], -v[34:35], v[50:51], 1.0
	v_fmac_f64_e32 v[50:51], v[50:51], v[52:53]
	v_fma_f64 v[52:53], -v[34:35], v[50:51], 1.0
	v_div_scale_f64 v[20:21], s[12:13], v[10:11], v[10:11], v[2:3]
	v_fmac_f64_e32 v[50:51], v[50:51], v[52:53]
	v_div_scale_f64 v[52:53], vcc, v[28:29], v[32:33], v[28:29]
	v_rcp_f64_e32 v[22:23], v[20:21]
	v_mul_f64 v[54:55], v[52:53], v[50:51]
	v_fma_f64 v[34:35], -v[34:35], v[54:55], v[52:53]
	s_nop 0
	v_div_fmas_f64 v[6:7], v[34:35], v[50:51], v[54:55]
	v_div_fixup_f64 v[6:7], v[6:7], v[32:33], v[28:29]
	v_fma_f64 v[28:29], -v[20:21], v[22:23], 1.0
	v_fmac_f64_e32 v[22:23], v[22:23], v[28:29]
	v_fma_f64 v[28:29], -v[20:21], v[22:23], 1.0
	v_fmac_f64_e32 v[22:23], v[22:23], v[28:29]
	v_div_scale_f64 v[28:29], vcc, v[2:3], v[10:11], v[2:3]
	v_mul_f64 v[30:31], v[28:29], v[22:23]
	v_fma_f64 v[20:21], -v[20:21], v[30:31], v[28:29]
	s_nop 1
	v_div_fmas_f64 v[20:21], v[20:21], v[22:23], v[30:31]
	v_div_fixup_f64 v[30:31], v[20:21], v[10:11], v[2:3]
	v_add_f64 v[2:3], v[48:49], -v[30:31]
	v_add_f64 v[2:3], v[2:3], -v[6:7]
.LBB0_193:
	s_or_b64 exec, exec, s[10:11]
                                        ; implicit-def: $vgpr10_vgpr11
.LBB0_194:
	s_andn2_saveexec_b64 s[8:9], s[8:9]
	s_cbranch_execz .LBB0_196
; %bb.195:
	s_mov_b32 s10, 0xf2e07f
	v_mov_b32_e32 v0, 0x9f017ad7
	v_mov_b32_e32 v1, 0x3eb45678
	s_mov_b32 s11, 0xbe76731b
	v_fmac_f64_e32 v[0:1], s[10:11], v[10:11]
	v_mov_b32_e32 v2, 0xcb5eca91
	v_mov_b32_e32 v3, 0xbee84196
	v_fmac_f64_e32 v[2:3], v[10:11], v[0:1]
	v_mov_b32_e32 v0, 0xfc817ba3
	v_mov_b32_e32 v1, 0x3f1840e4
	;; [unrolled: 3-line block ×7, first 2 shown]
	s_mov_b32 s10, 0x652b82fe
	v_fmac_f64_e32 v[4:5], v[10:11], v[0:1]
	v_mov_b32_e32 v2, 0x55555441
	v_mov_b32_e32 v3, 0x3fd55555
	s_mov_b32 s11, 0xbff71547
	v_fmac_f64_e32 v[2:3], v[10:11], v[4:5]
	v_mul_f64 v[4:5], v[10:11], s[10:11]
	s_mov_b32 s10, 0xfefa39ef
	v_rndne_f64_e32 v[4:5], v[4:5]
	s_mov_b32 s11, 0xbfe62e42
	v_fma_f64 v[6:7], v[4:5], s[10:11], -v[10:11]
	s_mov_b32 s10, 0x3b39803f
	s_mov_b32 s11, 0xbc7abc9e
	v_fmac_f64_e32 v[6:7], s[10:11], v[4:5]
	s_mov_b32 s10, 0x6a5dcb37
	v_mov_b32_e32 v20, 0xfca7ab0c
	v_mov_b32_e32 v21, 0x3e928af3
	s_mov_b32 s11, 0x3e5ade15
	v_fmac_f64_e32 v[20:21], s[10:11], v[6:7]
	v_mov_b32_e32 v22, 0x623fde64
	v_mov_b32_e32 v23, 0x3ec71dee
	v_fmac_f64_e32 v[22:23], v[6:7], v[20:21]
	v_mov_b32_e32 v20, 0x7c89e6b0
	v_mov_b32_e32 v21, 0x3efa0199
	;; [unrolled: 3-line block ×8, first 2 shown]
	v_fmac_f64_e32 v[20:21], v[6:7], v[22:23]
	v_fma_f64 v[20:21], v[6:7], v[20:21], 1.0
	s_mov_b32 s10, 0
	v_fma_f64 v[6:7], v[6:7], v[20:21], 1.0
	v_cvt_i32_f64_e32 v4, v[4:5]
	s_mov_b32 s11, 0x4090cc00
	v_ldexp_f64 v[4:5], v[6:7], v4
	v_cmp_nlt_f64_e32 vcc, s[10:11], v[10:11]
	v_add_f64 v[0:1], v[10:11], v[10:11]
	s_mov_b32 s10, 0xb5854706
	v_cndmask_b32_e32 v7, 0, v5, vcc
	v_cndmask_b32_e32 v6, 0, v4, vcc
	v_fmac_f64_e32 v[6:7], v[0:1], v[2:3]
	v_mov_b32_e32 v0, 0xaf9e55b8
	v_mov_b32_e32 v1, 0x3e5ac13b
	s_mov_b32 s11, 0xbe2434db
	v_fmac_f64_e32 v[0:1], s[10:11], v[10:11]
	v_mov_b32_e32 v4, 0xa38c1acd
	v_mov_b32_e32 v5, 0xbe6878e6
	v_fmac_f64_e32 v[4:5], v[10:11], v[0:1]
	v_mov_b32_e32 v0, 0x1c6c69c7
	v_mov_b32_e32 v1, 0xbec4876f
	;; [unrolled: 3-line block ×6, first 2 shown]
	s_mov_b32 s10, 0x3a602ec4
	v_fmac_f64_e32 v[20:21], v[10:11], v[4:5]
	v_mov_b32_e32 v0, 0x6e4ad393
	v_mov_b32_e32 v1, 0x3fc0ba91
	;; [unrolled: 1-line block ×4, first 2 shown]
	s_mov_b32 s11, 0xbe5a909d
	v_fmac_f64_e32 v[0:1], v[10:11], v[20:21]
	v_fmac_f64_e32 v[4:5], s[10:11], v[10:11]
	v_mov_b32_e32 v20, 0x2ad55635
	v_mov_b32_e32 v21, 0x3ebecad8
	v_fmac_f64_e32 v[20:21], v[10:11], v[4:5]
	v_mov_b32_e32 v4, 0x63a723e3
	v_mov_b32_e32 v5, 0xbef5aa54
	;; [unrolled: 3-line block ×7, first 2 shown]
	v_fmac_f64_e32 v[4:5], v[10:11], v[22:23]
	v_add_f64 v[10:11], v[2:3], -v[6:7]
	v_fmac_f64_e32 v[2:3], v[0:1], v[10:11]
	v_add_f64 v[10:11], v[4:5], 1.0
	v_mul_f64 v[2:3], v[10:11], v[2:3]
	v_add_f64 v[10:11], v[4:5], -v[0:1]
	v_div_scale_f64 v[20:21], s[10:11], v[10:11], v[10:11], v[2:3]
	v_rcp_f64_e32 v[22:23], v[20:21]
	s_nop 0
	v_fma_f64 v[26:27], -v[20:21], v[22:23], 1.0
	v_fmac_f64_e32 v[22:23], v[22:23], v[26:27]
	v_fma_f64 v[26:27], -v[20:21], v[22:23], 1.0
	v_fmac_f64_e32 v[22:23], v[22:23], v[26:27]
	v_div_scale_f64 v[26:27], vcc, v[2:3], v[10:11], v[2:3]
	v_mul_f64 v[28:29], v[26:27], v[22:23]
	v_fma_f64 v[20:21], -v[20:21], v[28:29], v[26:27]
	v_mov_b64_e32 v[26:27], 0
	s_nop 0
	v_div_fmas_f64 v[20:21], v[20:21], v[22:23], v[28:29]
	v_div_fixup_f64 v[30:31], v[20:21], v[10:11], v[2:3]
	v_add_f64 v[2:3], v[6:7], -v[30:31]
	v_mov_b64_e32 v[6:7], 0
.LBB0_196:
	s_or_b64 exec, exec, s[8:9]
                                        ; implicit-def: $vgpr10_vgpr11
.LBB0_197:
	s_andn2_saveexec_b64 s[6:7], s[6:7]
	s_cbranch_execz .LBB0_201
; %bb.198:
	scratch_load_dword v0, off, s33 offset:932 ; 4-byte Folded Reload
	v_mov_b64_e32 v[6:7], 0
	v_mov_b64_e32 v[2:3], 0
	s_waitcnt vmcnt(0)
	v_cmp_eq_u32_e32 vcc, 0, v0
	v_mov_b64_e32 v[0:1], 0
	s_and_saveexec_b64 s[8:9], vcc
	s_cbranch_execz .LBB0_200
; %bb.199:
	s_mov_b32 s10, 0xf2e07f
	v_mov_b32_e32 v0, 0x9f017ad7
	v_mov_b32_e32 v1, 0x3eb45678
	s_mov_b32 s11, 0xbe76731b
	v_fmac_f64_e32 v[0:1], s[10:11], v[10:11]
	v_mov_b32_e32 v2, 0xcb5eca91
	v_mov_b32_e32 v3, 0xbee84196
	v_fmac_f64_e32 v[2:3], v[10:11], v[0:1]
	v_mov_b32_e32 v0, 0xfc817ba3
	v_mov_b32_e32 v1, 0x3f1840e4
	;; [unrolled: 3-line block ×7, first 2 shown]
	s_mov_b32 s10, 0x652b82fe
	v_fmac_f64_e32 v[2:3], v[10:11], v[0:1]
	v_mov_b32_e32 v0, 0x55555441
	v_mov_b32_e32 v1, 0x3fd55555
	s_mov_b32 s11, 0xbff71547
	v_fmac_f64_e32 v[0:1], v[10:11], v[2:3]
	v_mul_f64 v[2:3], v[10:11], s[10:11]
	s_mov_b32 s10, 0xfefa39ef
	v_rndne_f64_e32 v[2:3], v[2:3]
	s_mov_b32 s11, 0xbfe62e42
	v_fma_f64 v[26:27], v[2:3], s[10:11], -v[10:11]
	s_mov_b32 s10, 0x3b39803f
	s_mov_b32 s11, 0xbc7abc9e
	v_fmac_f64_e32 v[26:27], s[10:11], v[2:3]
	s_mov_b32 s10, 0x6a5dcb37
	v_mov_b32_e32 v20, 0xfca7ab0c
	v_mov_b32_e32 v21, 0x3e928af3
	s_mov_b32 s11, 0x3e5ade15
	v_fmac_f64_e32 v[20:21], s[10:11], v[26:27]
	v_mov_b32_e32 v22, 0x623fde64
	v_mov_b32_e32 v23, 0x3ec71dee
	v_fmac_f64_e32 v[22:23], v[26:27], v[20:21]
	v_mov_b32_e32 v20, 0x7c89e6b0
	v_mov_b32_e32 v21, 0x3efa0199
	;; [unrolled: 3-line block ×8, first 2 shown]
	v_fmac_f64_e32 v[20:21], v[26:27], v[22:23]
	v_fma_f64 v[20:21], v[26:27], v[20:21], 1.0
	s_mov_b32 s10, 0
	v_fma_f64 v[20:21], v[26:27], v[20:21], 1.0
	v_cvt_i32_f64_e32 v2, v[2:3]
	s_mov_b32 s11, 0x4090cc00
	v_ldexp_f64 v[2:3], v[20:21], v2
	v_cmp_nlt_f64_e32 vcc, s[10:11], v[10:11]
	v_add_f64 v[4:5], v[10:11], v[10:11]
	s_nop 0
	v_cndmask_b32_e32 v3, 0, v3, vcc
	v_cndmask_b32_e32 v2, 0, v2, vcc
	v_fmac_f64_e32 v[2:3], v[4:5], v[0:1]
	v_add_f64 v[4:5], v[2:3], -v[0:1]
	v_div_scale_f64 v[10:11], s[10:11], v[4:5], v[4:5], v[0:1]
	v_rcp_f64_e32 v[20:21], v[10:11]
	s_nop 0
	v_fma_f64 v[22:23], -v[10:11], v[20:21], 1.0
	v_fmac_f64_e32 v[20:21], v[20:21], v[22:23]
	v_fma_f64 v[22:23], -v[10:11], v[20:21], 1.0
	v_fmac_f64_e32 v[20:21], v[20:21], v[22:23]
	v_div_scale_f64 v[22:23], vcc, v[0:1], v[4:5], v[0:1]
	v_mul_f64 v[26:27], v[22:23], v[20:21]
	v_fma_f64 v[10:11], -v[10:11], v[26:27], v[22:23]
	s_nop 1
	v_div_fmas_f64 v[10:11], v[10:11], v[20:21], v[26:27]
	v_div_fixup_f64 v[0:1], v[10:11], v[4:5], v[0:1]
.LBB0_200:
	s_or_b64 exec, exec, s[8:9]
	v_mov_b64_e32 v[30:31], 0
	v_mov_b64_e32 v[26:27], 0
	;; [unrolled: 1-line block ×3, first 2 shown]
.LBB0_201:
	s_or_b64 exec, exec, s[6:7]
	s_or_b64 exec, exec, s[4:5]
                                        ; implicit-def: $vgpr10_vgpr11
.LBB0_202:
	s_andn2_saveexec_b64 s[2:3], s[2:3]
	s_cbranch_execz .LBB0_216
.LBB0_203:
	scratch_load_dword v0, off, s33 offset:932 ; 4-byte Folded Reload
                                        ; implicit-def: $vgpr6_vgpr7
                                        ; implicit-def: $vgpr30_vgpr31
                                        ; implicit-def: $vgpr2_vgpr3
                                        ; implicit-def: $vgpr26_vgpr27
                                        ; implicit-def: $vgpr4_vgpr5
	s_waitcnt vmcnt(0)
	v_cmp_lt_i32_e32 vcc, 0, v0
                                        ; implicit-def: $vgpr0_vgpr1
	s_and_saveexec_b64 s[4:5], vcc
	s_xor_b64 s[4:5], exec, s[4:5]
	s_cbranch_execz .LBB0_211
; %bb.204:
	scratch_load_dword v0, off, s33 offset:932 ; 4-byte Folded Reload
                                        ; implicit-def: $vgpr6_vgpr7
                                        ; implicit-def: $vgpr30_vgpr31
                                        ; implicit-def: $vgpr2_vgpr3
                                        ; implicit-def: $vgpr26_vgpr27
                                        ; implicit-def: $vgpr4_vgpr5
	s_waitcnt vmcnt(0)
	v_cmp_lt_i32_e32 vcc, 1, v0
                                        ; implicit-def: $vgpr0_vgpr1
	s_and_saveexec_b64 s[6:7], vcc
	s_xor_b64 s[6:7], exec, s[6:7]
	s_cbranch_execz .LBB0_208
; %bb.205:
	scratch_load_dword v0, off, s33 offset:932 ; 4-byte Folded Reload
	v_mov_b64_e32 v[6:7], 0
	v_mov_b64_e32 v[30:31], 0
	;; [unrolled: 1-line block ×5, first 2 shown]
	s_waitcnt vmcnt(0)
	v_cmp_eq_u32_e32 vcc, 2, v0
	v_mov_b64_e32 v[0:1], 0
	s_and_saveexec_b64 s[8:9], vcc
	s_cbranch_execz .LBB0_207
; %bb.206:
	s_mov_b32 s10, 0xf2659ea3
	v_mov_b32_e32 v0, 0x69e53e5f
	v_mov_b32_e32 v1, 0x3faee9b9
	s_mov_b32 s11, 0xbf8305fb
	v_fmac_f64_e32 v[0:1], s[10:11], v[10:11]
	s_mov_b32 s10, 0xa6d85c05
	v_mov_b32_e32 v4, 0xa78fc4ff
	v_mov_b32_e32 v5, 0x3fe8dbbc
	s_mov_b32 s11, 0xbfbe984a
	v_fmac_f64_e32 v[4:5], s[10:11], v[10:11]
	;; [unrolled: 5-line block ×6, first 2 shown]
.LBB0_207:
	s_or_b64 exec, exec, s[8:9]
                                        ; implicit-def: $vgpr10_vgpr11
.LBB0_208:
	s_andn2_saveexec_b64 s[6:7], s[6:7]
	s_cbranch_execz .LBB0_210
; %bb.209:
	s_mov_b32 s8, 0x524bf7a9
	v_mov_b32_e32 v0, 0x6e4ad393
	v_mov_b32_e32 v1, 0x3fc0ba91
	s_mov_b32 s9, 0xbf9dbd74
	v_fmac_f64_e32 v[0:1], s[8:9], v[10:11]
	s_mov_b32 s8, 0xb2c2e8dd
	v_mov_b32_e32 v4, 0xe91b52bc
	v_mov_b32_e32 v5, 0x4006f456
	s_mov_b32 s9, 0xbfe46769
	v_fmac_f64_e32 v[4:5], s[8:9], v[10:11]
	;; [unrolled: 5-line block ×4, first 2 shown]
	v_mov_b64_e32 v[6:7], 0
	v_mov_b64_e32 v[26:27], 0
.LBB0_210:
	s_or_b64 exec, exec, s[6:7]
                                        ; implicit-def: $vgpr10_vgpr11
.LBB0_211:
	s_andn2_saveexec_b64 s[4:5], s[4:5]
	s_cbranch_execz .LBB0_215
; %bb.212:
	scratch_load_dword v0, off, s33 offset:932 ; 4-byte Folded Reload
	v_mov_b64_e32 v[6:7], 0
	v_mov_b64_e32 v[2:3], 0
	s_waitcnt vmcnt(0)
	v_cmp_eq_u32_e32 vcc, 0, v0
	v_mov_b64_e32 v[0:1], 0
	s_and_saveexec_b64 s[6:7], vcc
	s_cbranch_execz .LBB0_214
; %bb.213:
	s_mov_b32 s8, 0
	s_mov_b32 s9, 0xc0140000
	v_div_scale_f64 v[0:1], s[10:11], s[8:9], s[8:9], v[10:11]
	v_rcp_f64_e32 v[2:3], v[0:1]
	s_mov_b32 s10, 0
	s_mov_b32 s11, 0xc0080000
	v_fma_f64 v[4:5], -v[0:1], v[2:3], 1.0
	v_fmac_f64_e32 v[2:3], v[2:3], v[4:5]
	v_fma_f64 v[4:5], -v[0:1], v[2:3], 1.0
	v_fmac_f64_e32 v[2:3], v[2:3], v[4:5]
	v_div_scale_f64 v[4:5], vcc, v[10:11], s[8:9], v[10:11]
	v_mul_f64 v[20:21], v[4:5], v[2:3]
	v_fma_f64 v[0:1], -v[0:1], v[20:21], v[4:5]
	v_div_scale_f64 v[4:5], s[12:13], s[10:11], s[10:11], v[10:11]
	v_rcp_f64_e32 v[22:23], v[4:5]
	v_div_fmas_f64 v[0:1], v[0:1], v[2:3], v[20:21]
	v_div_fixup_f64 v[0:1], v[0:1], s[8:9], v[10:11]
	v_add_f64 v[0:1], v[0:1], 0.5
	v_fma_f64 v[2:3], -v[4:5], v[22:23], 1.0
	v_fmac_f64_e32 v[22:23], v[22:23], v[2:3]
	v_fma_f64 v[2:3], -v[4:5], v[22:23], 1.0
	v_fmac_f64_e32 v[22:23], v[22:23], v[2:3]
	v_div_scale_f64 v[2:3], vcc, v[10:11], s[10:11], v[10:11]
	v_mul_f64 v[20:21], v[2:3], v[22:23]
	v_fma_f64 v[2:3], -v[4:5], v[20:21], v[2:3]
	s_nop 1
	v_div_fmas_f64 v[2:3], v[2:3], v[22:23], v[20:21]
	v_div_fixup_f64 v[2:3], v[2:3], s[10:11], v[10:11]
	v_add_f64 v[2:3], v[2:3], 1.0
.LBB0_214:
	s_or_b64 exec, exec, s[6:7]
	v_mov_b64_e32 v[30:31], 0
	v_mov_b64_e32 v[26:27], 0
	;; [unrolled: 1-line block ×3, first 2 shown]
.LBB0_215:
	s_or_b64 exec, exec, s[4:5]
.LBB0_216:
	s_or_b64 exec, exec, s[2:3]
	v_cmp_lt_i32_e32 vcc, 1, v44
	scratch_store_dwordx2 off, v[0:1], s33 offset:192
	scratch_store_dwordx2 off, v[2:3], s33 offset:256
	s_and_saveexec_b64 s[2:3], vcc
	s_cbranch_execz .LBB0_218
; %bb.217:
	scratch_store_dwordx2 off, v[4:5], s33 offset:200
	scratch_store_dwordx2 off, v[30:31], s33 offset:264
.LBB0_218:
	s_or_b64 exec, exec, s[2:3]
	v_cmp_lt_i32_e32 vcc, 3, v44
	s_and_saveexec_b64 s[2:3], vcc
	s_cbranch_execz .LBB0_220
; %bb.219:
	scratch_store_dwordx2 off, v[26:27], s33 offset:208
	scratch_store_dwordx2 off, v[6:7], s33 offset:272
.LBB0_220:
	s_or_b64 exec, exec, s[2:3]
.LBB0_221:
	s_or_b64 exec, exec, s[0:1]
	v_cmp_lt_i32_e32 vcc, -2, v44
	v_mov_b64_e32 v[10:11], 0
	s_and_saveexec_b64 s[2:3], vcc
	s_cbranch_execz .LBB0_297
; %bb.222:
	scratch_load_dwordx4 v[4:7], off, s33 offset:1100 ; 16-byte Folded Reload
	scratch_load_dwordx4 v[0:3], off, s33 offset:1116 ; 16-byte Folded Reload
	v_mov_b64_e32 v[52:53], v[12:13]
	v_accvgpr_read_b32 v14, a58
	v_accvgpr_read_b32 v15, a59
	v_accvgpr_write_b32 a33, v36
	v_accvgpr_read_b32 v37, a19
	v_accvgpr_read_b32 v51, a23
	;; [unrolled: 1-line block ×6, first 2 shown]
	v_add_f64 v[58:59], v[48:49], -v[34:35]
	v_accvgpr_read_b32 v35, a11
	v_accvgpr_read_b32 v33, a9
	;; [unrolled: 1-line block ×3, first 2 shown]
	s_mov_b32 s20, 0x652b82fe
	s_mov_b32 s21, 0x3ff71547
	;; [unrolled: 1-line block ×3, first 2 shown]
                                        ; implicit-def: $vgpr61 : SGPR spill to VGPR lane
	s_mov_b32 s64, 0xfefa39ef
	s_mov_b32 s65, s83
	;; [unrolled: 1-line block ×3, first 2 shown]
	v_writelane_b32 v61, s2, 0
	s_mov_b32 s52, 0x3b39803f
	s_mov_b32 s53, s97
	;; [unrolled: 1-line block ×3, first 2 shown]
	v_writelane_b32 v61, s3, 1
	s_mov_b32 s23, 0x3e5ade15
	s_mov_b32 s2, 0x623fde64
	;; [unrolled: 1-line block ×23, first 2 shown]
	v_accvgpr_read_b32 v36, a18
	v_accvgpr_read_b32 v50, a22
	;; [unrolled: 1-line block ×3, first 2 shown]
	v_mov_b32_e32 v46, v60
	v_mov_b32_e32 v60, v43
	v_accvgpr_write_b32 a32, v45
	s_mov_b32 s34, 0x55555555
	s_mov_b32 s35, 0x3fe55555
	;; [unrolled: 1-line block ×3, first 2 shown]
	s_movk_i32 s80, 0x204
	s_brev_b32 s81, -2
	s_mov_b64 s[36:37], s[78:79]
	s_mov_b64 s[38:39], s[88:89]
	;; [unrolled: 1-line block ×4, first 2 shown]
	s_waitcnt vmcnt(0)
	v_mul_f64 v[6:7], v[0:1], v[4:5]
	v_div_scale_f64 v[0:1], s[0:1], v[52:53], v[52:53], v[6:7]
	v_rcp_f64_e32 v[2:3], v[0:1]
	s_mov_b32 s0, 0
	s_brev_b32 s1, 8
	v_fma_f64 v[4:5], -v[0:1], v[2:3], 1.0
	v_fmac_f64_e32 v[2:3], v[2:3], v[4:5]
	v_fma_f64 v[4:5], -v[0:1], v[2:3], 1.0
	v_fmac_f64_e32 v[2:3], v[2:3], v[4:5]
	v_div_scale_f64 v[4:5], vcc, v[6:7], v[52:53], v[6:7]
	v_mul_f64 v[10:11], v[4:5], v[2:3]
	v_fma_f64 v[0:1], -v[0:1], v[10:11], v[4:5]
	s_nop 1
	v_div_fmas_f64 v[10:11], v[0:1], v[2:3], v[10:11]
	v_mov_b32_e32 v0, 0x100
	v_cmp_gt_f64_e32 vcc, s[0:1], v[8:9]
	v_div_fixup_f64 v[6:7], v[10:11], v[52:53], v[6:7]
	s_nop 0
	v_cndmask_b32_e32 v0, 0, v0, vcc
	v_ldexp_f64 v[0:1], v[8:9], v0
	v_rsq_f64_e32 v[2:3], v[0:1]
	v_accvgpr_read_b32 v8, a24
	v_accvgpr_read_b32 v9, a25
	v_mul_f64 v[4:5], v[0:1], v[2:3]
	v_mul_f64 v[2:3], v[2:3], 0.5
	v_fma_f64 v[20:21], -v[2:3], v[4:5], 0.5
	v_fmac_f64_e32 v[4:5], v[4:5], v[20:21]
	v_fmac_f64_e32 v[2:3], v[2:3], v[20:21]
	v_fma_f64 v[20:21], -v[4:5], v[4:5], v[0:1]
	v_fmac_f64_e32 v[4:5], v[20:21], v[2:3]
	v_fma_f64 v[20:21], -v[4:5], v[4:5], v[0:1]
	v_fmac_f64_e32 v[4:5], v[20:21], v[2:3]
	v_mov_b32_e32 v2, 0xffffff80
	v_cndmask_b32_e32 v2, 0, v2, vcc
	v_ldexp_f64 v[2:3], v[4:5], v2
	v_mov_b32_e32 v4, 0x260
	v_cmp_class_f64_e32 vcc, v[0:1], v4
	s_nop 1
	v_cndmask_b32_e32 v13, v3, v1, vcc
	v_cndmask_b32_e32 v12, v2, v0, vcc
	v_div_scale_f64 v[2:3], s[0:1], v[14:15], v[14:15], 0.5
	v_rcp_f64_e32 v[4:5], v[2:3]
	s_nop 0
	v_fma_f64 v[20:21], -v[2:3], v[4:5], 1.0
	v_fmac_f64_e32 v[4:5], v[4:5], v[20:21]
	v_fma_f64 v[20:21], -v[2:3], v[4:5], 1.0
	v_fmac_f64_e32 v[4:5], v[4:5], v[20:21]
	v_div_scale_f64 v[20:21], vcc, 0.5, v[14:15], 0.5
	v_mul_f64 v[22:23], v[20:21], v[4:5]
	v_fma_f64 v[2:3], -v[2:3], v[22:23], v[20:21]
	s_nop 1
	v_div_fmas_f64 v[0:1], v[2:3], v[4:5], v[22:23]
	v_div_scale_f64 v[4:5], s[0:1], v[52:53], v[52:53], 0.5
	v_rcp_f64_e32 v[20:21], v[4:5]
	v_accvgpr_write_b32 a35, v1
	v_accvgpr_write_b32 a34, v0
	v_fma_f64 v[22:23], -v[4:5], v[20:21], 1.0
	v_fmac_f64_e32 v[20:21], v[20:21], v[22:23]
	v_fma_f64 v[22:23], -v[4:5], v[20:21], 1.0
	v_fmac_f64_e32 v[20:21], v[20:21], v[22:23]
	v_div_scale_f64 v[22:23], vcc, 0.5, v[52:53], 0.5
	v_mul_f64 v[26:27], v[22:23], v[20:21]
	v_fma_f64 v[4:5], -v[4:5], v[26:27], v[22:23]
	s_nop 1
	v_div_fmas_f64 v[0:1], v[4:5], v[20:21], v[26:27]
	scratch_load_dwordx4 v[2:5], off, s33 offset:1068 ; 16-byte Folded Reload
	scratch_load_dwordx4 v[18:21], off, s33 offset:1084 ; 16-byte Folded Reload
	v_accvgpr_write_b32 a41, v1
	v_accvgpr_write_b32 a40, v0
	v_mov_b32_e32 v0, 0x7ff00000
	s_waitcnt vmcnt(0)
	v_mul_f64 v[20:21], v[18:19], -v[2:3]
	v_div_scale_f64 v[22:23], s[0:1], v[14:15], v[14:15], v[20:21]
	v_rcp_f64_e32 v[26:27], v[22:23]
	v_mov_b64_e32 v[2:3], v[16:17]
	v_accvgpr_read_b32 v19, a7
	v_accvgpr_read_b32 v17, a5
	v_fma_f64 v[28:29], -v[22:23], v[26:27], 1.0
	v_fmac_f64_e32 v[26:27], v[26:27], v[28:29]
	v_fma_f64 v[28:29], -v[22:23], v[26:27], 1.0
	v_fmac_f64_e32 v[26:27], v[26:27], v[28:29]
	v_div_scale_f64 v[28:29], vcc, v[20:21], v[14:15], v[20:21]
	v_mul_f64 v[30:31], v[28:29], v[26:27]
	v_fma_f64 v[22:23], -v[22:23], v[30:31], v[28:29]
	v_accvgpr_read_b32 v16, a4
	s_nop 0
	v_div_fmas_f64 v[22:23], v[22:23], v[26:27], v[30:31]
	v_div_fixup_f64 v[10:11], v[22:23], v[14:15], v[20:21]
	v_mul_f64 v[20:21], v[58:59], v[6:7]
	v_add_f64 v[40:41], v[16:17], -v[32:33]
	v_mul_f64 v[20:21], v[58:59], v[20:21]
	v_mul_f64 v[22:23], v[40:41], v[10:11]
	v_fma_f64 v[26:27], v[40:41], v[22:23], -v[20:21]
	v_mul_f64 v[20:21], v[26:27], s[20:21]
	v_rndne_f64_e32 v[30:31], v[20:21]
	s_mov_b32 s0, 0xfca7ab0c
	v_fma_f64 v[32:33], s[64:65], v[30:31], v[26:27]
	s_mov_b32 s1, 0x3e928af3
	v_fmac_f64_e32 v[32:33], s[52:53], v[30:31]
	v_mov_b64_e32 v[20:21], s[0:1]
	v_fma_f64 v[22:23], s[22:23], v[32:33], v[20:21]
	v_fma_f64 v[22:23], v[32:33], v[22:23], s[2:3]
	;; [unrolled: 1-line block ×9, first 2 shown]
	v_fma_f64 v[22:23], v[32:33], v[22:23], 1.0
	v_fma_f64 v[22:23], v[32:33], v[22:23], 1.0
	v_cvt_i32_f64_e32 v28, v[30:31]
	v_ldexp_f64 v[22:23], v[22:23], v28
	v_mul_f64 v[22:23], v[22:23], s[18:19]
	v_cmp_nlt_f64_e32 vcc, s[24:25], v[26:27]
	v_cmp_ngt_f64_e64 s[0:1], s[26:27], v[26:27]
	v_accvgpr_read_b32 v18, a6
	v_cndmask_b32_e32 v23, v0, v23, vcc
	s_and_b64 vcc, s[0:1], vcc
	v_cndmask_b32_e64 v27, 0, v23, s[0:1]
	v_cndmask_b32_e32 v26, 0, v22, vcc
	v_div_scale_f64 v[22:23], s[0:1], v[12:13], v[12:13], v[26:27]
	v_rcp_f64_e32 v[28:29], v[22:23]
	v_add_f64 v[42:43], v[18:19], -v[34:35]
	v_add_f64 v[54:55], v[8:9], -v[18:19]
	v_mul_f64 v[34:35], v[42:43], v[10:11]
	v_fma_f64 v[30:31], -v[22:23], v[28:29], 1.0
	v_fmac_f64_e32 v[28:29], v[28:29], v[30:31]
	v_fma_f64 v[30:31], -v[22:23], v[28:29], 1.0
	v_fmac_f64_e32 v[28:29], v[28:29], v[30:31]
	v_div_scale_f64 v[30:31], vcc, v[26:27], v[12:13], v[26:27]
	v_mul_f64 v[32:33], v[30:31], v[28:29]
	v_fma_f64 v[22:23], -v[22:23], v[32:33], v[30:31]
	v_add_f64 v[30:31], v[50:51], -v[36:37]
	s_nop 0
	v_div_fmas_f64 v[4:5], v[22:23], v[28:29], v[32:33]
	v_accvgpr_read_b32 v33, a31
	v_accvgpr_write_b32 a4, v4
	v_accvgpr_read_b32 v32, a30
	v_accvgpr_write_b32 a5, v5
	v_add_f64 v[4:5], v[32:33], -v[16:17]
	v_accvgpr_read_b32 v28, a28
	v_accvgpr_write_b32 a7, v5
	v_accvgpr_read_b32 v29, a29
	v_accvgpr_write_b32 a6, v4
	v_add_f64 v[18:19], v[28:29], -v[18:19]
	v_add_f64 v[4:5], v[28:29], -v[50:51]
	v_mul_f64 v[28:29], v[30:31], v[6:7]
	v_mul_f64 v[28:29], v[30:31], v[28:29]
	v_fma_f64 v[28:29], v[42:43], v[34:35], -v[28:29]
	v_mul_f64 v[34:35], v[28:29], s[20:21]
	v_rndne_f64_e32 v[34:35], v[34:35]
	v_fma_f64 v[36:37], s[64:65], v[34:35], v[28:29]
	v_fmac_f64_e32 v[36:37], s[52:53], v[34:35]
	v_fma_f64 v[38:39], s[22:23], v[36:37], v[20:21]
	v_fma_f64 v[38:39], v[36:37], v[38:39], s[2:3]
	;; [unrolled: 1-line block ×9, first 2 shown]
	v_fma_f64 v[38:39], v[36:37], v[38:39], 1.0
	v_fma_f64 v[36:37], v[36:37], v[38:39], 1.0
	v_cvt_i32_f64_e32 v34, v[34:35]
	v_ldexp_f64 v[34:35], v[36:37], v34
	v_mul_f64 v[34:35], v[34:35], s[18:19]
	v_cmp_nlt_f64_e32 vcc, s[24:25], v[28:29]
	v_cmp_ngt_f64_e64 s[0:1], s[26:27], v[28:29]
	v_accvgpr_read_b32 v22, a26
	v_cndmask_b32_e32 v35, v0, v35, vcc
	s_and_b64 vcc, s[0:1], vcc
	v_cndmask_b32_e64 v35, 0, v35, s[0:1]
	v_cndmask_b32_e32 v34, 0, v34, vcc
	v_div_scale_f64 v[28:29], s[0:1], v[12:13], v[12:13], v[34:35]
	v_rcp_f64_e32 v[36:37], v[28:29]
	v_accvgpr_read_b32 v23, a27
	v_add_f64 v[44:45], v[22:23], -v[16:17]
	v_add_f64 v[32:33], v[32:33], -v[48:49]
	v_fma_f64 v[38:39], -v[28:29], v[36:37], 1.0
	v_fmac_f64_e32 v[36:37], v[36:37], v[38:39]
	v_fma_f64 v[38:39], -v[28:29], v[36:37], 1.0
	v_fmac_f64_e32 v[36:37], v[36:37], v[38:39]
	v_div_scale_f64 v[38:39], vcc, v[34:35], v[12:13], v[34:35]
	v_add_f64 v[22:23], v[22:23], -v[48:49]
	v_mul_f64 v[48:49], v[38:39], v[36:37]
	v_fma_f64 v[28:29], -v[28:29], v[48:49], v[38:39]
	v_add_f64 v[50:51], v[8:9], -v[50:51]
	v_div_fmas_f64 v[36:37], v[28:29], v[36:37], v[48:49]
	v_accvgpr_read_b32 v9, a1
	v_accvgpr_read_b32 v29, a3
	;; [unrolled: 1-line block ×4, first 2 shown]
	v_mov_b32_e32 v48, v0
	v_add_f64 v[0:1], v[8:9], -v[28:29]
	v_accvgpr_read_b32 v29, a15
	v_accvgpr_read_b32 v28, a14
	v_add_f64 v[16:17], v[28:29], -v[24:25]
	v_mul_f64 v[6:7], v[16:17], v[6:7]
	v_mul_f64 v[10:11], v[0:1], v[10:11]
	;; [unrolled: 1-line block ×3, first 2 shown]
	v_fma_f64 v[6:7], v[0:1], v[10:11], -v[6:7]
	v_mul_f64 v[10:11], v[6:7], s[20:21]
	v_mov_b64_e32 v[24:25], v[2:3]
	v_rndne_f64_e32 v[10:11], v[10:11]
	v_add_f64 v[2:3], v[24:25], -v[8:9]
	v_add_f64 v[8:9], v[56:57], -v[8:9]
	;; [unrolled: 1-line block ×4, first 2 shown]
	v_fma_f64 v[28:29], s[64:65], v[10:11], v[6:7]
	v_fmac_f64_e32 v[28:29], s[52:53], v[10:11]
	v_fmac_f64_e32 v[20:21], s[22:23], v[28:29]
	v_fma_f64 v[20:21], v[28:29], v[20:21], s[2:3]
	v_fma_f64 v[20:21], v[28:29], v[20:21], s[4:5]
	;; [unrolled: 1-line block ×8, first 2 shown]
	v_fma_f64 v[20:21], v[28:29], v[20:21], 1.0
	v_fma_f64 v[20:21], v[28:29], v[20:21], 1.0
	v_cvt_i32_f64_e32 v10, v[10:11]
	v_ldexp_f64 v[10:11], v[20:21], v10
	v_mul_f64 v[10:11], v[10:11], s[18:19]
	v_cmp_nlt_f64_e32 vcc, s[24:25], v[6:7]
	v_cmp_ngt_f64_e64 s[0:1], s[26:27], v[6:7]
	s_mov_b32 s6, 0
	v_cndmask_b32_e32 v11, v48, v11, vcc
	s_and_b64 vcc, s[0:1], vcc
	v_cndmask_b32_e64 v7, 0, v11, s[0:1]
	v_cndmask_b32_e32 v6, 0, v10, vcc
	v_div_scale_f64 v[10:11], s[0:1], v[12:13], v[12:13], v[6:7]
	v_rcp_f64_e32 v[20:21], v[10:11]
	s_add_i32 s1, s33, 0x140
	s_mov_b32 s0, s1
	s_mov_b32 s65, 0x3fe62e42
	v_fma_f64 v[28:29], -v[10:11], v[20:21], 1.0
	v_fmac_f64_e32 v[20:21], v[20:21], v[28:29]
	v_fma_f64 v[28:29], -v[10:11], v[20:21], 1.0
	v_fmac_f64_e32 v[20:21], v[20:21], v[28:29]
	v_div_scale_f64 v[28:29], vcc, v[6:7], v[12:13], v[6:7]
	v_mul_f64 v[38:39], v[28:29], v[20:21]
	v_fma_f64 v[10:11], -v[10:11], v[38:39], v[28:29]
	s_mov_b32 s53, 0x3c7abc9e
	s_nop 0
	v_div_fmas_f64 v[10:11], v[10:11], v[20:21], v[38:39]
	v_accvgpr_read_b32 v21, a5
	v_accvgpr_read_b32 v20, a4
	v_div_fixup_f64 v[20:21], v[20:21], v[12:13], v[26:27]
	v_div_fixup_f64 v[6:7], v[10:11], v[12:13], v[6:7]
	v_mul_f64 v[10:11], v[52:53], v[32:33]
	scratch_store_dwordx2 off, v[20:21], s33 offset:876 ; 8-byte Folded Spill
	v_div_fixup_f64 v[20:21], v[36:37], v[12:13], v[34:35]
	v_fmac_f64_e32 v[10:11], v[14:15], v[22:23]
	scratch_store_dwordx2 off, v[20:21], s33 offset:884 ; 8-byte Folded Spill
	scratch_store_dwordx2 off, v[6:7], s33 offset:892 ; 8-byte Folded Spill
	;; [unrolled: 1-line block ×5, first 2 shown]
	v_mul_f64 v[4:5], v[52:53], v[4:5]
	v_fmac_f64_e32 v[4:5], v[14:15], v[50:51]
	scratch_store_dwordx2 off, v[4:5], s33 offset:992 ; 8-byte Folded Spill
	v_accvgpr_read_b32 v4, a40
	v_accvgpr_read_b32 v5, a41
	v_mul_f64 v[12:13], v[52:53], v[8:9]
	v_mov_b64_e32 v[8:9], v[0:1]
	v_mul_f64 v[0:1], v[52:53], v[56:57]
	v_div_fixup_f64 v[4:5], v[4:5], v[52:53], 0.5
	v_fmac_f64_e32 v[0:1], v[14:15], v[24:25]
	scratch_store_dwordx2 off, v[4:5], s33 offset:1000 ; 8-byte Folded Spill
	v_accvgpr_read_b32 v4, a6
	scratch_store_dwordx2 off, v[0:1], s33 offset:1032 ; 8-byte Folded Spill
	v_accvgpr_read_b32 v0, a34
	v_accvgpr_read_b32 v5, a7
	;; [unrolled: 1-line block ×3, first 2 shown]
	v_mul_f64 v[4:5], v[52:53], v[4:5]
	v_mul_f64 v[10:11], v[52:53], v[18:19]
	v_div_fixup_f64 v[0:1], v[0:1], v[14:15], 0.5
	v_accvgpr_read_b32 v6, a33
	scratch_store_dwordx2 off, v[56:57], s33 offset:960 ; 8-byte Folded Spill
	scratch_store_dwordx2 off, v[0:1], s33 offset:1040 ; 8-byte Folded Spill
	;; [unrolled: 1-line block ×3, first 2 shown]
	v_fmac_f64_e32 v[4:5], v[14:15], v[44:45]
	v_fmac_f64_e32 v[10:11], v[14:15], v[54:55]
	v_lshlrev_b32_e32 v0, 3, v6
	v_mul_lo_u32 v1, v47, 56
	scratch_store_dwordx2 off, v[4:5], s33 offset:1008 ; 8-byte Folded Spill
	scratch_store_dwordx2 off, v[54:55], s33 offset:976 ; 8-byte Folded Spill
	;; [unrolled: 1-line block ×4, first 2 shown]
	v_fmac_f64_e32 v[12:13], v[14:15], v[2:3]
	v_add3_u32 v0, s0, v0, v1
	v_accvgpr_read_b32 v2, a12
	v_accvgpr_read_b32 v5, a38
	scratch_store_dword off, v0, s33 offset:1056 ; 4-byte Folded Spill
	v_lshlrev_b32_e32 v0, 3, v2
	v_mul_lo_u32 v1, v5, 56
	v_add3_u32 v0, s0, v0, v1
	v_accvgpr_read_b32 v4, a37
	v_accvgpr_read_b32 v3, a13
	scratch_store_dword off, v0, s33 offset:1060 ; 4-byte Folded Spill
	v_lshlrev_b32_e32 v0, 3, v4
	v_mul_lo_u32 v1, v3, 56
	v_add3_u32 v0, s0, v0, v1
	scratch_store_dword off, v0, s33 offset:1064 ; 4-byte Folded Spill
	scratch_load_dword v0, off, s33 offset:780 ; 4-byte Folded Reload
	v_accvgpr_read_b32 v1, a32
	scratch_store_dwordx2 off, v[12:13], s33 offset:1048 ; 8-byte Folded Spill
	v_add_u32_e32 v12, v1, v47
	v_cmp_lt_i32_e64 s[4:5], 1, v12
	v_cmp_lt_i32_e64 s[0:1], 0, v12
	v_add_u32_e32 v14, v46, v5
	v_writelane_b32 v61, s4, 2
	v_cmp_lt_i32_e64 s[8:9], 1, v14
	v_add_u32_e32 v18, v60, v3
	v_writelane_b32 v61, s5, 3
	v_writelane_b32 v61, s0, 4
	v_cmp_lt_i32_e64 s[10:11], 1, v18
	scratch_store_dword off, v1, s33 offset:848 ; 4-byte Folded Spill
	v_writelane_b32 v61, s1, 5
	scratch_store_dword off, v46, s33 offset:852 ; 4-byte Folded Spill
	scratch_store_dwordx2 off, v[30:31], s33 offset:800 ; 8-byte Folded Spill
	scratch_store_dword off, v60, s33 offset:856 ; 4-byte Folded Spill
	v_cmp_eq_f64_e64 s[84:85], 1.0, v[8:9]
	scratch_store_dwordx2 off, v[16:17], s33 offset:808 ; 8-byte Folded Spill
	v_mov_b32_e32 v24, 0x968915a9
	v_mov_b32_e32 v25, 0x3fba6564
	;; [unrolled: 1-line block ×27, first 2 shown]
	v_mov_b64_e32 v[10:11], 0
	scratch_store_dwordx2 off, v[58:59], s33 offset:792 ; 8-byte Folded Spill
	s_waitcnt vmcnt(7)
	v_add_u32_e32 v13, v0, v6
	v_cmp_lt_i32_e64 s[2:3], 0, v13
	v_cmp_lt_i32_e64 s[14:15], 1, v13
	v_mov_b32_e32 v6, 0x11122322
	v_writelane_b32 v61, s2, 6
	s_and_b64 s[0:1], s[0:1], s[2:3]
	s_nop 0
	v_writelane_b32 v61, s3, 7
	v_writelane_b32 v61, s0, 8
	v_cmp_eq_f64_e64 s[2:3], 1.0, v[40:41]
	s_nop 0
	v_writelane_b32 v61, s1, 9
	v_cmp_lt_i32_e64 s[0:1], -1, v0
	scratch_load_dword v0, off, s33 offset:784 ; 4-byte Folded Reload
	s_waitcnt vmcnt(0)
	v_add_u32_e32 v15, v0, v2
	v_writelane_b32 v61, s0, 10
	v_cmp_lt_i32_e64 s[4:5], 0, v15
	v_cmp_lt_i32_e64 s[16:17], 1, v15
	v_writelane_b32 v61, s1, 11
	v_cmp_lt_i32_e64 s[0:1], -1, v1
	v_mov_b32_e32 v1, 0x3fe00000
	s_nop 0
	v_writelane_b32 v61, s0, 12
	s_nop 1
	v_writelane_b32 v61, s1, 13
	v_cmp_eq_f64_e64 s[0:1], 1.0, v[58:59]
	s_nop 1
	v_writelane_b32 v61, s0, 14
	s_nop 1
	v_writelane_b32 v61, s1, 15
	v_writelane_b32 v61, s8, 16
	v_cmp_lt_i32_e64 s[0:1], 0, v14
	s_nop 0
	v_writelane_b32 v61, s9, 17
	v_writelane_b32 v61, s0, 18
	s_nop 1
	v_writelane_b32 v61, s1, 19
	v_writelane_b32 v61, s4, 20
	s_and_b64 s[0:1], s[0:1], s[4:5]
	s_nop 0
	v_writelane_b32 v61, s5, 21
	v_writelane_b32 v61, s0, 22
	v_cmp_eq_f64_e64 s[4:5], 1.0, v[42:43]
	s_nop 0
	v_writelane_b32 v61, s1, 23
	v_cmp_lt_i32_e64 s[0:1], -1, v0
	scratch_load_dword v0, off, s33 offset:788 ; 4-byte Folded Reload
	s_waitcnt vmcnt(0)
	v_add_u32_e32 v19, v0, v4
	v_writelane_b32 v61, s0, 24
	v_cmp_lt_i32_e64 s[8:9], 0, v19
	v_cmp_lt_i32_e64 s[18:19], 1, v19
	v_writelane_b32 v61, s1, 25
	v_cmp_lt_i32_e64 s[0:1], -1, v46
	v_mov_b32_e32 v46, 0x55555511
	s_nop 0
	v_writelane_b32 v61, s0, 26
	s_nop 1
	v_writelane_b32 v61, s1, 27
	v_cmp_eq_f64_e64 s[0:1], 1.0, v[30:31]
	v_mov_b32_e32 v30, 0xcfa74449
	v_mov_b32_e32 v31, 0x3fc3b13b
	v_writelane_b32 v61, s0, 28
	s_nop 1
	v_writelane_b32 v61, s1, 29
	v_writelane_b32 v61, s10, 30
	v_cmp_lt_i32_e64 s[0:1], 0, v18
	s_nop 0
	v_writelane_b32 v61, s11, 31
	v_writelane_b32 v61, s0, 32
	s_nop 1
	v_writelane_b32 v61, s1, 33
	v_writelane_b32 v61, s8, 34
	s_and_b64 s[0:1], s[0:1], s[8:9]
	s_nop 0
	v_writelane_b32 v61, s9, 35
	v_writelane_b32 v61, s0, 36
	s_mov_b64 s[8:9], 0
	s_nop 0
	v_writelane_b32 v61, s1, 37
	v_cmp_lt_i32_e64 s[0:1], -1, v0
	v_mov_b32_e32 v0, 11
	scratch_store_dwordx2 off, v[0:1], s33 offset:736 ; 8-byte Folded Spill
	v_writelane_b32 v61, s0, 38
	scratch_store_dword off, v12, s33 offset:908 ; 4-byte Folded Spill
	scratch_store_dword off, v13, s33 offset:912 ; 4-byte Folded Spill
	;; [unrolled: 1-line block ×6, first 2 shown]
	scratch_store_dwordx2 off, v[8:9], s33 offset:824 ; 8-byte Folded Spill
	scratch_store_dwordx2 off, v[42:43], s33 offset:832 ; 8-byte Folded Spill
	;; [unrolled: 1-line block ×3, first 2 shown]
	v_writelane_b32 v61, s1, 39
	v_cmp_lt_i32_e64 s[0:1], -1, v60
	v_mov_b32_e32 v60, 0x3ff00000
	s_nop 0
	v_writelane_b32 v61, s0, 40
	s_nop 1
	v_writelane_b32 v61, s1, 41
	v_cmp_eq_f64_e64 s[0:1], 1.0, v[16:17]
	v_mov_b32_e32 v16, 0x555502a1
	v_mov_b32_e32 v17, 0x3fa55555
	v_writelane_b32 v61, s0, 42
	s_nop 1
	v_writelane_b32 v61, s1, 43
	s_movk_i32 s0, 0x48
	s_add_i32 s1, s33, s0
	s_add_i32 s0, s1, 0x140
	v_writelane_b32 v61, s0, 44
	v_writelane_b32 v61, s14, 45
	s_nop 1
	v_writelane_b32 v61, s15, 46
	v_writelane_b32 v61, s16, 47
	s_nop 1
	;; [unrolled: 3-line block ×5, first 2 shown]
	v_writelane_b32 v61, s5, 54
	s_branch .LBB0_225
.LBB0_223:                              ;   in Loop: Header=BB0_225 Depth=1
	s_or_b64 exec, exec, s[66:67]
	scratch_load_dword v12, off, s33 offset:908 ; 4-byte Folded Reload
	scratch_load_dword v13, off, s33 offset:912 ; 4-byte Folded Reload
	;; [unrolled: 1-line block ×6, first 2 shown]
	scratch_load_dwordx2 v[16:17], off, s33 offset:752 ; 8-byte Folded Reload
	scratch_load_dwordx2 v[46:47], off, s33 offset:760 ; 8-byte Folded Reload
	v_readlane_b32 s14, v61, 45
	v_readlane_b32 s16, v61, 47
	;; [unrolled: 1-line block ×8, first 2 shown]
.LBB0_224:                              ;   in Loop: Header=BB0_225 Depth=1
	s_or_b64 exec, exec, s[2:3]
	v_readlane_b32 s2, v61, 51
	v_readlane_b32 s0, v61, 55
	s_add_i32 s2, s33, s0
	v_accvgpr_write_b32 a0, v0
	s_add_i32 s0, s2, 0x100
	scratch_load_dwordx2 v[40:41], off, s33 offset:840 ; 8-byte Folded Reload
	scratch_load_dwordx2 v[42:43], off, s33 offset:832 ; 8-byte Folded Reload
	;; [unrolled: 1-line block ×5, first 2 shown]
	v_accvgpr_write_b32 a1, v1
	scratch_load_dwordx2 v[0:1], off, s0
	scratch_load_dwordx2 v[2:3], off, s33 offset:772 ; 8-byte Folded Reload
	scratch_load_dwordx2 v[4:5], off, s33 offset:816 ; 8-byte Folded Reload
	v_readlane_b32 s1, v61, 56
	v_readlane_b32 s8, v61, 57
	;; [unrolled: 1-line block ×3, first 2 shown]
	s_add_i32 s6, s1, 1
	v_readlane_b32 s4, v61, 53
	v_readlane_b32 s3, v61, 52
	;; [unrolled: 1-line block ×3, first 2 shown]
	s_waitcnt vmcnt(0)
	v_mul_f64 v[2:3], v[2:3], v[4:5]
	scratch_load_dword v4, off, s33 offset:932 ; 4-byte Folded Reload
	s_waitcnt vmcnt(0)
	v_cmp_eq_u32_e32 vcc, s1, v4
	v_accvgpr_read_b32 v5, a1
	v_accvgpr_read_b32 v4, a0
	v_mul_f64 v[2:3], v[2:3], v[4:5]
	s_or_b64 s[8:9], vcc, s[8:9]
	v_fmac_f64_e32 v[10:11], v[2:3], v[0:1]
	s_andn2_b64 exec, exec, s[8:9]
	s_cbranch_execz .LBB0_296
.LBB0_225:                              ; =>This Loop Header: Depth=1
                                        ;     Child Loop BB0_231 Depth 2
                                        ;     Child Loop BB0_234 Depth 2
                                        ;     Child Loop BB0_238 Depth 2
                                        ;       Child Loop BB0_240 Depth 3
                                        ;     Child Loop BB0_244 Depth 2
                                        ;       Child Loop BB0_246 Depth 3
                                        ;     Child Loop BB0_255 Depth 2
                                        ;     Child Loop BB0_258 Depth 2
                                        ;     Child Loop BB0_262 Depth 2
                                        ;       Child Loop BB0_264 Depth 3
                                        ;     Child Loop BB0_268 Depth 2
                                        ;       Child Loop BB0_270 Depth 3
	;; [unrolled: 6-line block ×3, first 2 shown]
	s_lshl_b32 s0, s6, 3
	s_add_i32 s1, s33, s0
	scratch_store_dwordx2 off, v[6:7], s33 offset:728 ; 8-byte Folded Spill
	scratch_store_dwordx2 off, v[10:11], s33 offset:900 ; 8-byte Folded Spill
	v_writelane_b32 v61, s0, 55
	s_add_i32 s0, s1, 0xc0
	scratch_load_dwordx2 v[0:1], off, s0
	s_waitcnt vmcnt(0)
	v_add_f64 v[2:3], v[0:1], 1.0
	v_div_scale_f64 v[4:5], s[0:1], v[2:3], v[2:3], 1.0
	v_rcp_f64_e32 v[6:7], v[4:5]
	v_mul_f64 v[0:1], v[0:1], 0.5
	v_fma_f64 v[8:9], -v[4:5], v[6:7], 1.0
	v_fmac_f64_e32 v[6:7], v[6:7], v[8:9]
	v_fma_f64 v[8:9], -v[4:5], v[6:7], 1.0
	v_fmac_f64_e32 v[6:7], v[6:7], v[8:9]
	v_div_scale_f64 v[8:9], vcc, 1.0, v[2:3], 1.0
	v_mul_f64 v[10:11], v[8:9], v[6:7]
	v_fma_f64 v[4:5], -v[4:5], v[10:11], v[8:9]
	s_nop 1
	v_div_fmas_f64 v[4:5], v[4:5], v[6:7], v[10:11]
	scratch_load_dwordx2 v[10:11], off, s33 offset:936 ; 8-byte Folded Reload
	v_div_fixup_f64 v[40:41], v[4:5], v[2:3], 1.0
	s_waitcnt vmcnt(0)
	v_div_scale_f64 v[4:5], s[0:1], v[10:11], v[10:11], v[0:1]
	v_rcp_f64_e32 v[2:3], v[4:5]
	s_nop 0
	v_fma_f64 v[6:7], -v[4:5], v[2:3], 1.0
	v_fmac_f64_e32 v[2:3], v[2:3], v[6:7]
	v_fma_f64 v[6:7], -v[4:5], v[2:3], 1.0
	v_fmac_f64_e32 v[2:3], v[2:3], v[6:7]
	v_div_scale_f64 v[6:7], vcc, v[0:1], v[10:11], v[0:1]
	v_mul_f64 v[8:9], v[6:7], v[2:3]
	v_fma_f64 v[4:5], -v[4:5], v[8:9], v[6:7]
	s_nop 1
	v_div_fmas_f64 v[2:3], v[4:5], v[2:3], v[8:9]
	v_div_fixup_f64 v[0:1], v[2:3], v[10:11], v[0:1]
	v_mul_f64 v[2:3], v[0:1], v[40:41]
	scratch_load_dwordx2 v[0:1], off, s33 offset:1008 ; 8-byte Folded Reload
	s_waitcnt vmcnt(0)
	v_mul_f64 v[0:1], v[0:1], v[2:3]
	scratch_store_dwordx2 off, v[2:3], s33 offset:744 ; 8-byte Folded Spill
	v_add_f64 v[2:3], v[0:1], v[0:1]
	scratch_load_dwordx2 v[0:1], off, s33 offset:968 ; 8-byte Folded Reload
	s_waitcnt vmcnt(0)
	v_fmac_f64_e32 v[2:3], v[0:1], v[40:41]
	scratch_load_dwordx2 v[0:1], off, s33 offset:876 ; 8-byte Folded Reload
	s_waitcnt vmcnt(0)
	scratch_store_dwordx2 off, v[0:1], s33 offset:320
	s_mov_b64 s[0:1], exec
	v_readlane_b32 s2, v61, 4
	v_readlane_b32 s3, v61, 5
	s_and_b64 s[2:3], s[0:1], s[2:3]
	s_mov_b64 exec, s[2:3]
	s_cbranch_execz .LBB0_227
; %bb.226:                              ;   in Loop: Header=BB0_225 Depth=1
	scratch_load_dwordx2 v[0:1], off, s33 offset:876 ; 8-byte Folded Reload
	s_waitcnt vmcnt(0)
	v_mul_f64 v[0:1], v[0:1], v[2:3]
	scratch_store_dwordx2 off, v[0:1], s33 offset:376
.LBB0_227:                              ;   in Loop: Header=BB0_225 Depth=1
	v_writelane_b32 v61, s6, 56
	s_or_b64 exec, exec, s[0:1]
	scratch_load_dwordx2 v[0:1], off, s33 offset:984 ; 8-byte Folded Reload
	scratch_load_dwordx2 v[4:5], off, s33 offset:744 ; 8-byte Folded Reload
	s_waitcnt vmcnt(0)
	v_mul_f64 v[0:1], v[0:1], v[4:5]
	scratch_load_dwordx2 v[4:5], off, s33 offset:944 ; 8-byte Folded Reload
	v_add_f64 v[0:1], v[0:1], v[0:1]
	s_waitcnt vmcnt(0)
	v_fmac_f64_e32 v[0:1], v[4:5], v[40:41]
	s_mov_b64 s[0:1], exec
	v_readlane_b32 s2, v61, 6
	v_readlane_b32 s3, v61, 7
	s_and_b64 s[2:3], s[0:1], s[2:3]
	s_mov_b64 exec, s[2:3]
	s_cbranch_execz .LBB0_229
; %bb.228:                              ;   in Loop: Header=BB0_225 Depth=1
	scratch_load_dwordx2 v[4:5], off, s33 offset:876 ; 8-byte Folded Reload
	s_waitcnt vmcnt(0)
	v_mul_f64 v[4:5], v[4:5], v[0:1]
	scratch_store_dwordx2 off, v[4:5], s33 offset:328
.LBB0_229:                              ;   in Loop: Header=BB0_225 Depth=1
	s_or_b64 exec, exec, s[0:1]
	scratch_load_dwordx2 v[4:5], off, s33 offset:1040 ; 8-byte Folded Reload
	scratch_load_dwordx2 v[6:7], off, s33 offset:744 ; 8-byte Folded Reload
	s_waitcnt vmcnt(0)
	v_fma_f64 v[10:11], v[4:5], v[40:41], v[6:7]
	scratch_store_dwordx2 off, v[40:41], s33 offset:860 ; 8-byte Folded Spill
	s_mov_b64 s[0:1], exec
	v_readlane_b32 s2, v61, 2
	v_readlane_b32 s3, v61, 3
	s_and_b64 s[2:3], s[0:1], s[2:3]
	s_mov_b64 exec, s[2:3]
	s_cbranch_execz .LBB0_232
; %bb.230:                              ;   in Loop: Header=BB0_225 Depth=1
	scratch_load_dwordx2 v[4:5], off, s33 offset:376
	s_add_i32 s2, s33, 0x140
	s_mov_b32 s4, s2
	s_mov_b32 s5, 1
	s_mov_b64 s[2:3], 0
.LBB0_231:                              ;   Parent Loop BB0_225 Depth=1
                                        ; =>  This Inner Loop Header: Depth=2
	scratch_load_dwordx2 v[8:9], off, s4
	v_cvt_f64_i32_e32 v[6:7], s5
	v_mul_f64 v[6:7], v[10:11], v[6:7]
	s_add_i32 s5, s5, 1
	s_add_i32 s6, s4, 0x70
	;; [unrolled: 1-line block ×3, first 2 shown]
	v_cmp_eq_u32_e32 vcc, s5, v12
	s_or_b64 s[2:3], vcc, s[2:3]
	s_waitcnt vmcnt(0)
	v_mul_f64 v[6:7], v[8:9], v[6:7]
	v_fmac_f64_e32 v[6:7], v[2:3], v[4:5]
	v_mov_b64_e32 v[4:5], v[6:7]
	scratch_store_dwordx2 off, v[6:7], s6
	s_andn2_b64 exec, exec, s[2:3]
	s_cbranch_execnz .LBB0_231
.LBB0_232:                              ;   in Loop: Header=BB0_225 Depth=1
	s_or_b64 exec, exec, s[0:1]
	scratch_store_dwordx2 off, v[10:11], s33 offset:868 ; 8-byte Folded Spill
	scratch_load_dwordx2 v[2:3], off, s33 offset:1000 ; 8-byte Folded Reload
	scratch_load_dwordx2 v[4:5], off, s33 offset:744 ; 8-byte Folded Reload
	;; [unrolled: 1-line block ×3, first 2 shown]
	s_waitcnt vmcnt(0)
	v_fma_f64 v[10:11], v[2:3], v[6:7], v[4:5]
	s_and_saveexec_b64 s[0:1], s[14:15]
	s_cbranch_execz .LBB0_235
; %bb.233:                              ;   in Loop: Header=BB0_225 Depth=1
	scratch_load_dwordx2 v[2:3], off, s33 offset:328
	s_add_i32 s2, s33, 0x140
	s_mov_b32 s4, s2
	s_mov_b32 s5, 1
	s_mov_b64 s[2:3], 0
.LBB0_234:                              ;   Parent Loop BB0_225 Depth=1
                                        ; =>  This Inner Loop Header: Depth=2
	scratch_load_dwordx2 v[6:7], off, s4
	v_cvt_f64_i32_e32 v[4:5], s5
	v_mul_f64 v[4:5], v[10:11], v[4:5]
	s_add_i32 s5, s5, 1
	s_add_i32 s6, s4, 16
	;; [unrolled: 1-line block ×3, first 2 shown]
	v_cmp_eq_u32_e32 vcc, s5, v13
	s_or_b64 s[2:3], vcc, s[2:3]
	s_waitcnt vmcnt(0)
	v_mul_f64 v[4:5], v[6:7], v[4:5]
	v_fmac_f64_e32 v[4:5], v[0:1], v[2:3]
	v_mov_b64_e32 v[2:3], v[4:5]
	scratch_store_dwordx2 off, v[4:5], s6
	s_andn2_b64 exec, exec, s[2:3]
	s_cbranch_execnz .LBB0_234
.LBB0_235:                              ;   in Loop: Header=BB0_225 Depth=1
	v_writelane_b32 v61, s8, 57
	s_nop 1
	v_writelane_b32 v61, s9, 58
	s_or_b64 exec, exec, s[0:1]
	s_mov_b64 s[0:1], exec
	v_readlane_b32 s2, v61, 8
	v_readlane_b32 s3, v61, 9
	s_and_b64 s[2:3], s[0:1], s[2:3]
	scratch_store_dwordx2 off, v[10:11], s33 offset:712 ; 8-byte Folded Spill
	s_mov_b64 exec, s[2:3]
	s_cbranch_execz .LBB0_241
; %bb.236:                              ;   in Loop: Header=BB0_225 Depth=1
	s_mov_b32 s9, 1
	s_mov_b64 s[2:3], 0
	v_mov_b64_e32 v[2:3], 1.0
	v_readlane_b32 s8, v61, 44
	s_branch .LBB0_238
.LBB0_237:                              ;   in Loop: Header=BB0_238 Depth=2
	s_or_b64 exec, exec, s[4:5]
	s_add_i32 s4, s9, 1
	s_add_i32 s8, s8, 56
	v_cmp_eq_u32_e32 vcc, s9, v12
	v_add_f64 v[2:3], v[2:3], 1.0
	s_or_b64 s[2:3], vcc, s[2:3]
	s_mov_b32 s9, s4
	s_andn2_b64 exec, exec, s[2:3]
	s_cbranch_execz .LBB0_241
.LBB0_238:                              ;   Parent Loop BB0_225 Depth=1
                                        ; =>  This Loop Header: Depth=2
                                        ;       Child Loop BB0_240 Depth 3
	s_mul_i32 s4, s9, 56
	s_add_i32 s5, s33, s4
	s_add_i32 s4, s5, 0x140
	;; [unrolled: 1-line block ×3, first 2 shown]
	scratch_load_dwordx2 v[6:7], off, s4
	scratch_load_dwordx2 v[8:9], off, s5
	scratch_load_dwordx2 v[4:5], off, s33 offset:744 ; 8-byte Folded Reload
	s_waitcnt vmcnt(2)
	v_mul_f64 v[6:7], v[0:1], v[6:7]
	s_waitcnt vmcnt(0)
	v_mul_f64 v[4:5], v[4:5], v[2:3]
	v_fmac_f64_e32 v[6:7], v[8:9], v[4:5]
	scratch_store_dwordx2 off, v[6:7], s4 offset:8
	s_and_saveexec_b64 s[4:5], s[14:15]
	s_cbranch_execz .LBB0_237
; %bb.239:                              ;   in Loop: Header=BB0_238 Depth=2
	s_mov_b32 s10, 1
	s_mov_b64 s[6:7], 0
	s_mov_b32 s11, s8
.LBB0_240:                              ;   Parent Loop BB0_225 Depth=1
                                        ;     Parent Loop BB0_238 Depth=2
                                        ; =>    This Inner Loop Header: Depth=3
	v_cvt_f64_i32_e32 v[8:9], s10
	s_add_i32 s12, s11, -16
	s_waitcnt vmcnt(1)
	v_mul_f64 v[8:9], v[10:11], v[8:9]
	scratch_load_dwordx2 v[10:11], off, s12
	s_add_i32 s12, s11, 0xffffffc0
	s_add_i32 s10, s10, 1
	v_cmp_eq_u32_e32 vcc, s10, v13
	s_waitcnt vmcnt(0)
	v_mul_f64 v[8:9], v[10:11], v[8:9]
	scratch_load_dwordx2 v[10:11], off, s12
	s_waitcnt vmcnt(0)
	v_fmac_f64_e32 v[8:9], v[4:5], v[10:11]
	scratch_load_dwordx2 v[10:11], off, s33 offset:712 ; 8-byte Folded Reload
	v_fmac_f64_e32 v[8:9], v[0:1], v[6:7]
	scratch_store_dwordx2 off, v[8:9], s11
	s_add_i32 s11, s11, 8
	s_or_b64 s[6:7], vcc, s[6:7]
	v_mov_b64_e32 v[6:7], v[8:9]
	s_andn2_b64 exec, exec, s[6:7]
	s_cbranch_execnz .LBB0_240
	s_branch .LBB0_237
.LBB0_241:                              ;   in Loop: Header=BB0_225 Depth=1
	s_or_b64 exec, exec, s[0:1]
	v_mov_b64_e32 v[0:1], 0
	s_mov_b64 s[2:3], exec
	v_readlane_b32 s0, v61, 10
	v_readlane_b32 s1, v61, 11
	s_and_b64 s[0:1], s[2:3], s[0:1]
                                        ; implicit-def: $vgpr62 : SGPR spill to VGPR lane
	s_mov_b64 exec, s[0:1]
	s_cbranch_execz .LBB0_249
; %bb.242:                              ;   in Loop: Header=BB0_225 Depth=1
	scratch_load_dword v45, off, s33 offset:1056 ; 4-byte Folded Reload
	v_writelane_b32 v61, s2, 59
	v_accvgpr_write_b32 a51, v17
	v_accvgpr_write_b32 a50, v16
	v_writelane_b32 v61, s3, 60
	v_mov_b64_e32 v[0:1], 0
	s_mov_b32 s86, 0
	s_mov_b64 s[2:3], 0
	s_branch .LBB0_244
.LBB0_243:                              ;   in Loop: Header=BB0_244 Depth=2
	s_or_b64 exec, exec, s[2:3]
	v_accvgpr_write_b32 a41, v31
	v_accvgpr_write_b32 a40, v30
	scratch_load_dword v31, off, s33 offset:768 ; 4-byte Folded Reload
	scratch_load_dword v44, off, s33 offset:780 ; 4-byte Folded Reload
	v_accvgpr_write_b32 a42, v54
	v_accvgpr_write_b32 a46, v52
	;; [unrolled: 1-line block ×10, first 2 shown]
	s_getpc_b64 s[0:1]
	s_add_u32 s0, s0, _Z13cuda_binomialii@rel32@lo+4
	s_addc_u32 s1, s1, _Z13cuda_binomialii@rel32@hi+12
	s_mov_b64 s[4:5], s[92:93]
	s_mov_b64 s[6:7], s[90:91]
	s_mov_b64 s[8:9], s[88:89]
	s_mov_b64 s[10:11], s[78:79]
	s_mov_b32 s12, s69
	s_mov_b32 s13, s99
	;; [unrolled: 1-line block ×4, first 2 shown]
	v_mov_b32_e32 v1, s86
	v_accvgpr_write_b32 a43, v55
	v_accvgpr_write_b32 a47, v53
	;; [unrolled: 1-line block ×10, first 2 shown]
	v_mov_b64_e32 v[56:57], v[26:27]
	v_mov_b64_e32 v[40:41], v[24:25]
	s_waitcnt vmcnt(0)
	v_mov_b32_e32 v0, v44
	s_swappc_b64 s[30:31], s[0:1]
	v_subrev_u32_e32 v1, s86, v44
	v_readlane_b32 s0, v61, 14
	v_cvt_f64_i32_e32 v[2:3], v1
	v_readlane_b32 s1, v61, 15
	s_mov_b32 s50, s34
	s_mov_b32 s82, s64
	v_cndmask_b32_e64 v5, v3, v60, s[0:1]
	v_cndmask_b32_e64 v4, v2, 0, s[0:1]
	scratch_load_dwordx2 v[2:3], off, s33 offset:792 ; 8-byte Folded Reload
	v_cmp_neq_f64_e32 vcc, 0, v[4:5]
	s_mov_b32 s0, 0x4222de17
	s_mov_b32 s1, 0x3fbdee67
	;; [unrolled: 1-line block ×3, first 2 shown]
	v_mov_b32_e32 v48, 0x7ff00000
	v_mov_b32_e32 v49, 0x7ff80000
	v_cmp_gt_f64_e64 s[2:3], 0, v[4:5]
	v_accvgpr_read_b32 v28, a32
	v_accvgpr_read_b32 v30, a40
	;; [unrolled: 1-line block ×9, first 2 shown]
	s_mov_b64 s[92:93], s[70:71]
	s_mov_b64 s[90:91], s[48:49]
	;; [unrolled: 1-line block ×4, first 2 shown]
	v_mov_b64_e32 v[24:25], v[40:41]
	v_mov_b64_e32 v[26:27], v[56:57]
	v_accvgpr_read_b32 v29, a33
	v_accvgpr_read_b32 v31, a41
	;; [unrolled: 1-line block ×9, first 2 shown]
	v_add_u32_e32 v45, 8, v45
	s_waitcnt vmcnt(0)
	v_cndmask_b32_e32 v3, v60, v3, vcc
	v_cndmask_b32_e32 v2, 0, v2, vcc
	v_frexp_mant_f64_e64 v[6:7], |v[2:3]|
	v_cmp_gt_f64_e32 vcc, s[34:35], v[6:7]
	v_cmp_class_f64_e64 s[4:5], v[2:3], s80
	s_nop 0
	v_cndmask_b32_e64 v1, 0, 1, vcc
	v_ldexp_f64 v[6:7], v[6:7], v1
	v_add_f64 v[8:9], v[6:7], 1.0
	v_rcp_f64_e32 v[10:11], v[8:9]
	v_add_f64 v[14:15], v[8:9], -1.0
	v_add_f64 v[12:13], v[6:7], -1.0
	v_add_f64 v[6:7], v[6:7], -v[14:15]
	v_fma_f64 v[14:15], -v[8:9], v[10:11], 1.0
	v_fmac_f64_e32 v[10:11], v[14:15], v[10:11]
	v_fma_f64 v[14:15], -v[8:9], v[10:11], 1.0
	v_fmac_f64_e32 v[10:11], v[14:15], v[10:11]
	v_mul_f64 v[14:15], v[12:13], v[10:11]
	v_mul_f64 v[16:17], v[8:9], v[14:15]
	v_fma_f64 v[8:9], v[14:15], v[8:9], -v[16:17]
	v_fmac_f64_e32 v[8:9], v[14:15], v[6:7]
	v_add_f64 v[6:7], v[16:17], v[8:9]
	v_add_f64 v[18:19], v[12:13], -v[6:7]
	v_add_f64 v[16:17], v[6:7], -v[16:17]
	;; [unrolled: 1-line block ×5, first 2 shown]
	v_add_f64 v[6:7], v[8:9], v[6:7]
	v_add_f64 v[6:7], v[18:19], v[6:7]
	v_mul_f64 v[6:7], v[10:11], v[6:7]
	v_add_f64 v[8:9], v[14:15], v[6:7]
	v_add_f64 v[10:11], v[8:9], -v[14:15]
	v_add_f64 v[6:7], v[6:7], -v[10:11]
	v_mul_f64 v[10:11], v[8:9], v[8:9]
	v_fma_f64 v[14:15], v[8:9], v[8:9], -v[10:11]
	v_add_f64 v[12:13], v[6:7], v[6:7]
	v_fmac_f64_e32 v[14:15], v[8:9], v[12:13]
	v_add_f64 v[12:13], v[10:11], v[14:15]
	v_add_f64 v[10:11], v[12:13], -v[10:11]
	v_add_f64 v[10:11], v[14:15], -v[10:11]
	v_mov_b64_e32 v[14:15], v[40:41]
	v_fmac_f64_e32 v[14:15], s[0:1], v[12:13]
	v_mov_b64_e32 v[16:17], v[56:57]
	v_fmac_f64_e32 v[16:17], v[12:13], v[14:15]
	v_accvgpr_read_b32 v14, a32
	v_accvgpr_read_b32 v15, a33
	v_fmac_f64_e32 v[14:15], v[12:13], v[16:17]
	v_accvgpr_read_b32 v16, a40
	v_accvgpr_read_b32 v17, a41
	;; [unrolled: 3-line block ×6, first 2 shown]
	v_fmac_f64_e32 v[16:17], v[12:13], v[14:15]
	v_mul_f64 v[14:15], v[8:9], v[12:13]
	v_fma_f64 v[18:19], v[12:13], v[8:9], -v[14:15]
	v_mul_f64 v[20:21], v[12:13], v[16:17]
	v_fmac_f64_e32 v[18:19], v[12:13], v[6:7]
	v_fma_f64 v[12:13], v[12:13], v[16:17], -v[20:21]
	v_fmac_f64_e32 v[12:13], v[10:11], v[16:17]
	v_fmac_f64_e32 v[18:19], v[10:11], v[8:9]
	v_add_f64 v[10:11], v[20:21], v[12:13]
	v_add_f64 v[16:17], v[10:11], -v[20:21]
	v_add_f64 v[12:13], v[12:13], -v[16:17]
	v_add_f64 v[16:17], v[10:11], s[34:35]
	s_mov_b32 s0, 0xd5df274d
	v_add_f64 v[20:21], v[16:17], s[50:51]
	s_mov_b32 s1, 0x3c8543b0
	v_add_f64 v[10:11], v[10:11], -v[20:21]
	v_add_f64 v[12:13], v[12:13], s[0:1]
	v_add_f64 v[10:11], v[12:13], v[10:11]
	;; [unrolled: 1-line block ×3, first 2 shown]
	v_add_f64 v[16:17], v[16:17], -v[12:13]
	v_add_f64 v[10:11], v[10:11], v[16:17]
	v_add_f64 v[16:17], v[14:15], v[18:19]
	v_mul_f64 v[20:21], v[16:17], v[12:13]
	v_fma_f64 v[22:23], v[16:17], v[12:13], -v[20:21]
	v_fmac_f64_e32 v[22:23], v[16:17], v[10:11]
	v_add_f64 v[10:11], v[16:17], -v[14:15]
	v_frexp_exp_i32_f64_e32 v1, v[2:3]
	v_add_f64 v[10:11], v[18:19], -v[10:11]
	v_subbrev_co_u32_e32 v1, vcc, 0, v1, vcc
	v_fmac_f64_e32 v[22:23], v[10:11], v[12:13]
	v_cvt_f64_i32_e32 v[10:11], v1
	v_mul_f64 v[12:13], v[10:11], s[64:65]
	v_fma_f64 v[14:15], v[10:11], s[64:65], -v[12:13]
	v_fmac_f64_e32 v[14:15], s[52:53], v[10:11]
	v_add_f64 v[10:11], v[12:13], v[14:15]
	v_add_f64 v[12:13], v[10:11], -v[12:13]
	v_add_f64 v[12:13], v[14:15], -v[12:13]
	v_add_f64 v[14:15], v[20:21], v[22:23]
	v_ldexp_f64 v[8:9], v[8:9], 1
	v_add_f64 v[16:17], v[14:15], -v[20:21]
	v_add_f64 v[18:19], v[8:9], v[14:15]
	v_add_f64 v[16:17], v[22:23], -v[16:17]
	v_add_f64 v[8:9], v[18:19], -v[8:9]
	v_ldexp_f64 v[6:7], v[6:7], 1
	v_add_f64 v[8:9], v[14:15], -v[8:9]
	v_add_f64 v[6:7], v[6:7], v[16:17]
	v_add_f64 v[6:7], v[6:7], v[8:9]
	;; [unrolled: 1-line block ×3, first 2 shown]
	v_add_f64 v[14:15], v[8:9], -v[18:19]
	v_add_f64 v[6:7], v[6:7], -v[14:15]
	v_add_f64 v[14:15], v[10:11], v[8:9]
	v_add_f64 v[16:17], v[14:15], -v[10:11]
	v_add_f64 v[18:19], v[14:15], -v[16:17]
	;; [unrolled: 1-line block ×4, first 2 shown]
	v_add_f64 v[8:9], v[8:9], v[10:11]
	v_add_f64 v[10:11], v[12:13], v[6:7]
	v_add_f64 v[16:17], v[10:11], -v[12:13]
	v_add_f64 v[18:19], v[10:11], -v[16:17]
	v_add_f64 v[8:9], v[10:11], v[8:9]
	v_add_f64 v[12:13], v[12:13], -v[18:19]
	v_add_f64 v[6:7], v[6:7], -v[16:17]
	v_add_f64 v[10:11], v[14:15], v[8:9]
	v_add_f64 v[6:7], v[6:7], v[12:13]
	v_add_f64 v[12:13], v[10:11], -v[14:15]
	v_add_f64 v[8:9], v[8:9], -v[12:13]
	v_add_f64 v[6:7], v[6:7], v[8:9]
	v_add_f64 v[8:9], v[10:11], v[6:7]
	v_add_f64 v[10:11], v[8:9], -v[10:11]
	v_add_f64 v[6:7], v[6:7], -v[10:11]
	v_mul_f64 v[10:11], v[4:5], v[8:9]
	v_fma_f64 v[8:9], v[4:5], v[8:9], -v[10:11]
	v_fmac_f64_e32 v[8:9], v[4:5], v[6:7]
	v_add_f64 v[6:7], v[10:11], v[8:9]
	v_cmp_class_f64_e64 vcc, v[10:11], s80
	s_mov_b32 s0, 0
	v_add_f64 v[12:13], v[6:7], -v[10:11]
	v_cndmask_b32_e32 v7, v7, v11, vcc
	v_cndmask_b32_e32 v6, v6, v10, vcc
	s_mov_b32 s1, 0x7ff00000
	v_cmp_neq_f64_e64 vcc, |v[6:7]|, s[0:1]
	s_mov_b32 s0, 0x652b82fe
	s_mov_b32 s1, 0x3ff71547
	v_mul_f64 v[10:11], v[6:7], s[0:1]
	v_rndne_f64_e32 v[10:11], v[10:11]
	v_add_f64 v[8:9], v[8:9], -v[12:13]
	v_fma_f64 v[12:13], s[82:83], v[10:11], v[6:7]
	v_accvgpr_read_b32 v14, a36
	s_mov_b32 s0, 0x6a5dcb37
	v_fmac_f64_e32 v[12:13], s[96:97], v[10:11]
	v_accvgpr_read_b32 v15, a37
	s_mov_b32 s1, 0x3e5ade15
	v_accvgpr_read_b32 v16, a48
	v_fmac_f64_e32 v[14:15], s[0:1], v[12:13]
	v_accvgpr_read_b32 v17, a49
	v_fmac_f64_e32 v[16:17], v[12:13], v[14:15]
	v_accvgpr_read_b32 v14, a54
	v_accvgpr_read_b32 v15, a55
	v_fmac_f64_e32 v[14:15], v[12:13], v[16:17]
	v_accvgpr_read_b32 v16, a46
	v_accvgpr_read_b32 v17, a47
	v_fmac_f64_e32 v[16:17], v[12:13], v[14:15]
	v_accvgpr_read_b32 v14, a42
	v_accvgpr_read_b32 v15, a43
	v_fmac_f64_e32 v[14:15], v[12:13], v[16:17]
	scratch_load_dwordx2 v[16:17], off, s33 offset:728 ; 8-byte Folded Reload
	s_mov_b32 s0, 0
	s_mov_b32 s1, 0x40900000
	v_cndmask_b32_e32 v9, 0, v9, vcc
	v_cndmask_b32_e32 v8, 0, v8, vcc
	v_cmp_nlt_f64_e32 vcc, s[0:1], v[6:7]
	s_mov_b32 s0, 0
	v_cvt_i32_f64_e32 v10, v[10:11]
	s_mov_b32 s1, 0xc090cc00
	v_cmp_ngt_f64_e64 s[0:1], s[0:1], v[6:7]
	v_cvt_f64_i32_e32 v[0:1], v0
	v_accvgpr_read_b32 v20, a36
	v_accvgpr_read_b32 v22, a48
	;; [unrolled: 1-line block ×4, first 2 shown]
	s_waitcnt vmcnt(0)
	v_fmac_f64_e32 v[16:17], v[12:13], v[14:15]
	v_accvgpr_read_b32 v14, a50
	v_accvgpr_read_b32 v15, a51
	v_fmac_f64_e32 v[14:15], v[12:13], v[16:17]
	v_mov_b64_e32 v[16:17], v[46:47]
	v_fmac_f64_e32 v[16:17], v[12:13], v[14:15]
	scratch_load_dwordx2 v[14:15], off, s33 offset:736 ; 8-byte Folded Reload
	s_waitcnt vmcnt(0)
	v_fmac_f64_e32 v[14:15], v[12:13], v[16:17]
	v_fma_f64 v[14:15], v[12:13], v[14:15], 1.0
	v_fma_f64 v[12:13], v[12:13], v[14:15], 1.0
	v_ldexp_f64 v[10:11], v[12:13], v10
	v_cndmask_b32_e32 v11, v48, v11, vcc
	s_and_b64 vcc, s[0:1], vcc
	v_cndmask_b32_e64 v7, 0, v11, s[0:1]
	v_cndmask_b32_e32 v6, 0, v10, vcc
	v_mov_b64_e32 v[10:11], v[6:7]
	v_fmac_f64_e32 v[10:11], v[10:11], v[8:9]
	v_cmp_class_f64_e64 vcc, v[6:7], s80
	v_trunc_f64_e32 v[8:9], v[4:5]
	s_nop 0
	v_cndmask_b32_e32 v6, v10, v6, vcc
	v_cndmask_b32_e32 v7, v11, v7, vcc
	v_cmp_eq_f64_e32 vcc, v[8:9], v[4:5]
	v_mul_f64 v[8:9], v[4:5], 0.5
	v_trunc_f64_e32 v[10:11], v[8:9]
	v_cmp_neq_f64_e64 s[0:1], v[10:11], v[8:9]
	s_and_b64 s[0:1], vcc, s[0:1]
	v_cndmask_b32_e32 v9, 0, v6, vcc
	v_cndmask_b32_e64 v8, v60, v3, s[0:1]
	v_bfi_b32 v7, s81, v7, v8
	v_cndmask_b32_e32 v8, v49, v7, vcc
	v_cmp_gt_f64_e32 vcc, 0, v[2:3]
	v_cndmask_b32_e64 v5, 0, v3, s[0:1]
	s_add_i32 s0, s86, 1
	v_cndmask_b32_e32 v6, v6, v9, vcc
	v_cndmask_b32_e32 v7, v7, v8, vcc
	v_cmp_eq_f64_e32 vcc, 0, v[2:3]
	s_xor_b64 s[2:3], s[2:3], vcc
	v_cndmask_b32_e64 v4, v48, 0, s[2:3]
	v_bfi_b32 v4, s81, v4, v5
	s_or_b64 vcc, vcc, s[4:5]
	v_cndmask_b32_e32 v4, v7, v4, vcc
	v_cndmask_b32_e64 v5, v6, 0, vcc
	v_cmp_o_f64_e32 vcc, v[2:3], v[2:3]
	v_readlane_b32 s2, v61, 61
	v_readlane_b32 s3, v61, 62
	v_cndmask_b32_e32 v2, 0, v5, vcc
	v_cndmask_b32_e32 v3, v49, v4, vcc
	v_mul_f64 v[0:1], v[2:3], v[0:1]
	scratch_load_dwordx2 v[2:3], off, s33 offset:772 ; 8-byte Folded Reload
	v_cmp_eq_u32_e32 vcc, s86, v44
	s_or_b64 s[2:3], vcc, s[2:3]
	s_mov_b32 s86, s0
	s_waitcnt vmcnt(0)
	v_fmac_f64_e32 v[2:3], v[42:43], v[0:1]
	v_mov_b64_e32 v[0:1], v[2:3]
	s_andn2_b64 exec, exec, s[2:3]
	s_cbranch_execz .LBB0_248
.LBB0_244:                              ;   Parent Loop BB0_225 Depth=1
                                        ; =>  This Loop Header: Depth=2
                                        ;       Child Loop BB0_246 Depth 3
	v_writelane_b32 v61, s2, 61
	v_mov_b64_e32 v[42:43], 0
	scratch_store_dwordx2 off, v[0:1], s33 offset:772 ; 8-byte Folded Spill
	v_writelane_b32 v61, s3, 62
	s_mov_b64 s[2:3], exec
	v_readlane_b32 s0, v61, 12
	v_readlane_b32 s1, v61, 13
	s_and_b64 s[0:1], s[2:3], s[0:1]
	s_mov_b64 exec, s[0:1]
	s_cbranch_execz .LBB0_243
; %bb.245:                              ;   in Loop: Header=BB0_244 Depth=2
	s_waitcnt vmcnt(1)
	scratch_store_dword off, v45, s33 offset:720 ; 4-byte Folded Spill
	scratch_load_dword a33, off, s33 offset:848 ; 4-byte Folded Reload
	scratch_load_dword a32, off, s33 offset:768 ; 4-byte Folded Reload
	scratch_load_dwordx2 v[40:41], off, s33 offset:840 ; 8-byte Folded Reload
	scratch_load_dwordx2 a[62:63], off, s33 offset:728 ; 8-byte Folded Reload
	;; [unrolled: 1-line block ×3, first 2 shown]
	v_writelane_b32 v61, s2, 63
	v_mov_b64_e32 v[42:43], 0
	v_readlane_b32 s66, v61, 51
	v_writelane_b32 v62, s3, 0
	s_mov_b32 s87, 0
	s_mov_b64 s[54:55], 0
	v_readlane_b32 s67, v61, 52
	s_waitcnt vmcnt(4)
	v_accvgpr_read_b32 v44, a33
.LBB0_246:                              ;   Parent Loop BB0_225 Depth=1
                                        ;     Parent Loop BB0_244 Depth=2
                                        ; =>    This Inner Loop Header: Depth=3
	v_accvgpr_write_b32 a41, v31
	s_getpc_b64 s[0:1]
	s_add_u32 s0, s0, _Z13cuda_binomialii@rel32@lo+4
	s_addc_u32 s1, s1, _Z13cuda_binomialii@rel32@hi+12
	s_mov_b64 s[4:5], s[92:93]
	s_mov_b64 s[6:7], s[90:91]
	;; [unrolled: 1-line block ×4, first 2 shown]
	s_mov_b32 s12, s69
	s_mov_b32 s13, s99
	;; [unrolled: 1-line block ×4, first 2 shown]
	v_accvgpr_write_b32 a40, v30
	s_waitcnt vmcnt(3)
	v_accvgpr_read_b32 v31, a32
	v_accvgpr_read_b32 v0, a33
	v_mov_b32_e32 v1, s87
	v_accvgpr_write_b32 a45, v27
	v_accvgpr_write_b32 a55, v29
	;; [unrolled: 1-line block ×12, first 2 shown]
	v_mov_b64_e32 v[56:57], v[24:25]
	v_accvgpr_write_b32 a44, v26
	v_accvgpr_write_b32 a54, v28
	;; [unrolled: 1-line block ×12, first 2 shown]
	s_swappc_b64 s[30:31], s[0:1]
	v_cvt_f64_i32_e32 v[2:3], v44
	v_cndmask_b32_e64 v5, v3, v60, s[66:67]
	v_cndmask_b32_e64 v4, v2, 0, s[66:67]
	v_cmp_neq_f64_e32 vcc, 0, v[4:5]
	v_trunc_f64_e32 v[6:7], v[4:5]
	v_mul_f64 v[8:9], v[4:5], 0.5
	v_cndmask_b32_e32 v3, v60, v41, vcc
	v_cndmask_b32_e32 v2, 0, v40, vcc
	v_frexp_mant_f64_e64 v[10:11], |v[2:3]|
	v_cmp_gt_f64_e64 s[0:1], s[34:35], v[10:11]
	v_cmp_eq_f64_e32 vcc, v[6:7], v[4:5]
	v_trunc_f64_e32 v[6:7], v[8:9]
	v_cndmask_b32_e64 v1, 0, 1, s[0:1]
	v_cmp_neq_f64_e64 s[2:3], v[6:7], v[8:9]
	v_ldexp_f64 v[6:7], v[10:11], v1
	v_add_f64 v[10:11], v[6:7], 1.0
	v_rcp_f64_e32 v[12:13], v[10:11]
	v_add_f64 v[14:15], v[10:11], -1.0
	v_add_f64 v[8:9], v[6:7], -1.0
	v_add_f64 v[6:7], v[6:7], -v[14:15]
	v_fma_f64 v[14:15], -v[10:11], v[12:13], 1.0
	v_fmac_f64_e32 v[12:13], v[14:15], v[12:13]
	v_fma_f64 v[14:15], -v[10:11], v[12:13], 1.0
	v_fmac_f64_e32 v[12:13], v[14:15], v[12:13]
	v_mul_f64 v[14:15], v[8:9], v[12:13]
	v_mul_f64 v[16:17], v[10:11], v[14:15]
	v_fma_f64 v[10:11], v[14:15], v[10:11], -v[16:17]
	v_fmac_f64_e32 v[10:11], v[14:15], v[6:7]
	v_add_f64 v[6:7], v[16:17], v[10:11]
	v_add_f64 v[16:17], v[6:7], -v[16:17]
	v_add_f64 v[10:11], v[16:17], -v[10:11]
	v_add_f64 v[16:17], v[8:9], -v[6:7]
	v_add_f64 v[8:9], v[8:9], -v[16:17]
	v_add_f64 v[6:7], v[8:9], -v[6:7]
	v_add_f64 v[6:7], v[10:11], v[6:7]
	v_add_f64 v[6:7], v[16:17], v[6:7]
	v_mul_f64 v[6:7], v[12:13], v[6:7]
	v_add_f64 v[8:9], v[14:15], v[6:7]
	v_add_f64 v[10:11], v[8:9], -v[14:15]
	v_mul_f64 v[12:13], v[8:9], v[8:9]
	v_add_f64 v[6:7], v[6:7], -v[10:11]
	v_fma_f64 v[10:11], v[8:9], v[8:9], -v[12:13]
	v_add_f64 v[14:15], v[6:7], v[6:7]
	v_fmac_f64_e32 v[10:11], v[8:9], v[14:15]
	v_add_f64 v[14:15], v[12:13], v[10:11]
	s_mov_b32 s4, 0x4222de17
	v_add_f64 v[12:13], v[14:15], -v[12:13]
	s_mov_b32 s5, 0x3fbdee67
	v_mov_b64_e32 v[18:19], v[56:57]
	v_add_f64 v[10:11], v[10:11], -v[12:13]
	v_accvgpr_read_b32 v12, a44
	v_accvgpr_read_b32 v13, a45
	v_fmac_f64_e32 v[18:19], s[4:5], v[14:15]
	v_accvgpr_read_b32 v16, a54
	v_fmac_f64_e32 v[12:13], v[14:15], v[18:19]
	;; [unrolled: 2-line block ×3, first 2 shown]
	v_accvgpr_read_b32 v12, a40
	v_accvgpr_read_b32 v13, a41
	v_fmac_f64_e32 v[12:13], v[14:15], v[16:17]
	v_accvgpr_read_b32 v16, a34
	v_accvgpr_read_b32 v17, a35
	v_fmac_f64_e32 v[16:17], v[14:15], v[12:13]
	;; [unrolled: 3-line block ×5, first 2 shown]
	v_mul_f64 v[16:17], v[8:9], v[14:15]
	v_fma_f64 v[18:19], v[14:15], v[8:9], -v[16:17]
	v_mul_f64 v[20:21], v[14:15], v[12:13]
	v_fmac_f64_e32 v[18:19], v[14:15], v[6:7]
	v_fma_f64 v[14:15], v[14:15], v[12:13], -v[20:21]
	v_fmac_f64_e32 v[14:15], v[10:11], v[12:13]
	v_fmac_f64_e32 v[18:19], v[10:11], v[8:9]
	v_add_f64 v[10:11], v[20:21], v[14:15]
	v_add_f64 v[12:13], v[10:11], -v[20:21]
	s_mov_b32 s14, 0xd5df274d
	v_add_f64 v[12:13], v[14:15], -v[12:13]
	s_mov_b32 s50, s34
	v_add_f64 v[14:15], v[10:11], s[34:35]
	s_mov_b32 s15, 0x3c8543b0
	v_add_f64 v[20:21], v[14:15], s[50:51]
	v_add_f64 v[10:11], v[10:11], -v[20:21]
	v_add_f64 v[12:13], v[12:13], s[14:15]
	v_add_f64 v[10:11], v[12:13], v[10:11]
	;; [unrolled: 1-line block ×3, first 2 shown]
	v_add_f64 v[14:15], v[14:15], -v[12:13]
	v_add_f64 v[10:11], v[10:11], v[14:15]
	v_add_f64 v[14:15], v[16:17], v[18:19]
	v_mul_f64 v[20:21], v[14:15], v[12:13]
	v_fma_f64 v[22:23], v[14:15], v[12:13], -v[20:21]
	v_fmac_f64_e32 v[22:23], v[14:15], v[10:11]
	v_add_f64 v[10:11], v[14:15], -v[16:17]
	v_frexp_exp_i32_f64_e32 v1, v[2:3]
	v_add_f64 v[10:11], v[18:19], -v[10:11]
	v_subbrev_co_u32_e64 v1, s[0:1], 0, v1, s[0:1]
	v_fmac_f64_e32 v[22:23], v[10:11], v[12:13]
	v_cvt_f64_i32_e32 v[10:11], v1
	v_mul_f64 v[12:13], v[10:11], s[64:65]
	v_fma_f64 v[14:15], v[10:11], s[64:65], -v[12:13]
	v_fmac_f64_e32 v[14:15], s[52:53], v[10:11]
	v_add_f64 v[10:11], v[12:13], v[14:15]
	v_add_f64 v[12:13], v[10:11], -v[12:13]
	v_add_f64 v[12:13], v[14:15], -v[12:13]
	v_add_f64 v[14:15], v[20:21], v[22:23]
	v_ldexp_f64 v[8:9], v[8:9], 1
	v_add_f64 v[16:17], v[14:15], -v[20:21]
	v_add_f64 v[18:19], v[8:9], v[14:15]
	v_add_f64 v[16:17], v[22:23], -v[16:17]
	v_add_f64 v[8:9], v[18:19], -v[8:9]
	v_ldexp_f64 v[6:7], v[6:7], 1
	v_add_f64 v[8:9], v[14:15], -v[8:9]
	v_add_f64 v[6:7], v[6:7], v[16:17]
	v_add_f64 v[6:7], v[6:7], v[8:9]
	;; [unrolled: 1-line block ×3, first 2 shown]
	v_add_f64 v[14:15], v[8:9], -v[18:19]
	v_add_f64 v[16:17], v[10:11], v[8:9]
	v_add_f64 v[6:7], v[6:7], -v[14:15]
	v_add_f64 v[14:15], v[16:17], -v[10:11]
	;; [unrolled: 1-line block ×5, first 2 shown]
	v_add_f64 v[14:15], v[12:13], v[6:7]
	v_add_f64 v[8:9], v[8:9], v[10:11]
	v_add_f64 v[10:11], v[14:15], -v[12:13]
	v_add_f64 v[6:7], v[6:7], -v[10:11]
	v_add_f64 v[10:11], v[14:15], -v[10:11]
	v_add_f64 v[10:11], v[12:13], -v[10:11]
	v_add_f64 v[8:9], v[14:15], v[8:9]
	v_add_f64 v[6:7], v[6:7], v[10:11]
	;; [unrolled: 1-line block ×3, first 2 shown]
	v_add_f64 v[16:17], v[10:11], -v[16:17]
	v_add_f64 v[8:9], v[8:9], -v[16:17]
	v_add_f64 v[6:7], v[6:7], v[8:9]
	v_add_f64 v[8:9], v[10:11], v[6:7]
	v_add_f64 v[10:11], v[8:9], -v[10:11]
	v_add_f64 v[6:7], v[6:7], -v[10:11]
	v_mul_f64 v[10:11], v[4:5], v[8:9]
	v_fma_f64 v[18:19], v[4:5], v[8:9], -v[10:11]
	s_and_b64 s[2:3], vcc, s[2:3]
	v_fmac_f64_e32 v[18:19], v[4:5], v[6:7]
	s_mov_b32 s6, 0x652b82fe
	v_cmp_gt_f64_e64 s[4:5], 0, v[4:5]
	v_cndmask_b32_e64 v13, v60, v3, s[2:3]
	v_cndmask_b32_e64 v12, 0, v3, s[2:3]
	v_add_f64 v[4:5], v[10:11], v[18:19]
	v_cmp_class_f64_e64 s[2:3], v[10:11], s80
	s_mov_b32 s7, 0x3ff71547
	s_mov_b32 s16, 0
	v_cndmask_b32_e64 v9, v5, v11, s[2:3]
	v_cndmask_b32_e64 v8, v4, v10, s[2:3]
	v_add_f64 v[4:5], v[4:5], -v[10:11]
	v_mul_f64 v[10:11], v[8:9], s[6:7]
	s_mov_b32 s82, s64
	v_rndne_f64_e32 v[10:11], v[10:11]
	s_mov_b32 s17, 0x7ff00000
	s_mov_b32 s8, 0x6a5dcb37
	;; [unrolled: 1-line block ×3, first 2 shown]
	v_accvgpr_read_b32 v14, a36
	v_add_f64 v[4:5], v[18:19], -v[4:5]
	v_fma_f64 v[18:19], s[82:83], v[10:11], v[8:9]
	s_mov_b32 s9, 0x3e5ade15
	v_accvgpr_read_b32 v15, a37
	v_accvgpr_read_b32 v16, a48
	v_cmp_neq_f64_e64 s[2:3], |v[8:9]|, s[16:17]
	v_fmac_f64_e32 v[18:19], s[96:97], v[10:11]
	v_accvgpr_read_b32 v17, a49
	v_cndmask_b32_e64 v7, 0, v5, s[2:3]
	v_cndmask_b32_e64 v6, 0, v4, s[2:3]
	v_fmac_f64_e32 v[14:15], s[8:9], v[18:19]
	v_accvgpr_read_b32 v4, a60
	v_fmac_f64_e32 v[16:17], v[18:19], v[14:15]
	v_accvgpr_read_b32 v5, a61
	v_accvgpr_read_b32 v14, a46
	v_fmac_f64_e32 v[4:5], v[18:19], v[16:17]
	v_accvgpr_read_b32 v15, a47
	v_fmac_f64_e32 v[14:15], v[18:19], v[4:5]
	v_accvgpr_read_b32 v4, a42
	v_accvgpr_read_b32 v5, a43
	v_fmac_f64_e32 v[4:5], v[18:19], v[14:15]
	v_accvgpr_read_b32 v14, a62
	;; [unrolled: 3-line block ×3, first 2 shown]
	v_accvgpr_read_b32 v5, a51
	v_fmac_f64_e32 v[4:5], v[18:19], v[14:15]
	v_mov_b64_e32 v[14:15], v[46:47]
	v_fmac_f64_e32 v[14:15], v[18:19], v[4:5]
	scratch_load_dwordx2 v[4:5], v45, off
	v_mov_b64_e32 v[16:17], v[58:59]
	v_fmac_f64_e32 v[16:17], v[18:19], v[14:15]
	s_mov_b32 s12, 0
	s_mov_b32 s10, 0
	v_cmp_eq_f64_e64 s[0:1], 0, v[2:3]
	v_cvt_i32_f64_e32 v14, v[10:11]
	v_fma_f64 v[10:11], v[18:19], v[16:17], 1.0
	v_accvgpr_read_b32 v48, a58
	s_mov_b32 s13, 0xc090cc00
	s_mov_b32 s11, 0x40900000
	s_xor_b64 s[4:5], s[4:5], s[0:1]
	v_fma_f64 v[10:11], v[18:19], v[10:11], 1.0
	v_cndmask_b32_e64 v1, v48, 0, s[4:5]
	v_ldexp_f64 v[10:11], v[10:11], v14
	v_cmp_nlt_f64_e64 s[4:5], s[10:11], v[8:9]
	v_cmp_ngt_f64_e64 s[6:7], s[12:13], v[8:9]
	v_accvgpr_read_b32 v49, a59
	v_cndmask_b32_e64 v11, v48, v11, s[4:5]
	s_and_b64 s[4:5], s[6:7], s[4:5]
	v_cndmask_b32_e64 v9, 0, v11, s[6:7]
	v_cndmask_b32_e64 v8, 0, v10, s[4:5]
	v_mov_b64_e32 v[10:11], v[8:9]
	v_fmac_f64_e32 v[10:11], v[10:11], v[6:7]
	v_cmp_class_f64_e64 s[4:5], v[8:9], s80
	v_cmp_class_f64_e64 s[8:9], v[2:3], s80
	v_bfi_b32 v12, s81, v1, v12
	v_cndmask_b32_e64 v7, v11, v9, s[4:5]
	v_cndmask_b32_e64 v6, v10, v8, s[4:5]
	v_bfi_b32 v7, s81, v7, v13
	v_cndmask_b32_e32 v8, v49, v7, vcc
	v_cndmask_b32_e32 v9, 0, v6, vcc
	v_cmp_gt_f64_e32 vcc, 0, v[2:3]
	v_add_u32_e32 v44, -1, v44
	v_cvt_f64_i32_e32 v[0:1], v0
	v_cndmask_b32_e32 v6, v6, v9, vcc
	v_cndmask_b32_e32 v7, v7, v8, vcc
	s_or_b64 vcc, s[0:1], s[8:9]
	v_cndmask_b32_e32 v7, v7, v12, vcc
	v_cndmask_b32_e64 v6, v6, 0, vcc
	v_cmp_o_f64_e32 vcc, v[2:3], v[2:3]
	v_accvgpr_read_b32 v55, a43
	v_accvgpr_read_b32 v53, a47
	v_cndmask_b32_e32 v2, 0, v6, vcc
	v_cndmask_b32_e32 v3, v49, v7, vcc
	v_accvgpr_read_b32 v50, a60
	v_accvgpr_read_b32 v38, a38
	;; [unrolled: 1-line block ×10, first 2 shown]
	s_add_i32 s87, s87, 1
	v_cmp_eq_u32_e64 s[2:3], -1, v44
	v_mul_f64 v[0:1], v[2:3], v[0:1]
	v_accvgpr_read_b32 v54, a42
	v_accvgpr_read_b32 v52, a46
	v_accvgpr_read_b32 v51, a61
	v_accvgpr_read_b32 v39, a39
	v_accvgpr_read_b32 v37, a53
	v_accvgpr_read_b32 v35, a57
	v_accvgpr_read_b32 v33, a35
	v_accvgpr_read_b32 v31, a41
	v_accvgpr_read_b32 v29, a55
	v_accvgpr_read_b32 v27, a45
	v_mov_b64_e32 v[24:25], v[56:57]
	s_mov_b64 s[92:93], s[70:71]
	s_mov_b64 s[90:91], s[48:49]
	;; [unrolled: 1-line block ×4, first 2 shown]
	v_accvgpr_read_b32 v21, a37
	v_accvgpr_read_b32 v23, a49
	v_add_u32_e32 v45, 56, v45
	s_or_b64 s[54:55], s[2:3], s[54:55]
	s_waitcnt vmcnt(0)
	v_fmac_f64_e32 v[42:43], v[4:5], v[0:1]
	s_andn2_b64 exec, exec, s[54:55]
	s_cbranch_execnz .LBB0_246
; %bb.247:                              ;   in Loop: Header=BB0_244 Depth=2
	s_or_b64 exec, exec, s[54:55]
	scratch_load_dword v45, off, s33 offset:720 ; 4-byte Folded Reload
	v_readlane_b32 s2, v61, 63
	v_readlane_b32 s3, v62, 0
	s_branch .LBB0_243
.LBB0_248:                              ;   in Loop: Header=BB0_225 Depth=1
	s_or_b64 exec, exec, s[2:3]
	scratch_load_dword v12, off, s33 offset:908 ; 4-byte Folded Reload
	scratch_load_dword v13, off, s33 offset:912 ; 4-byte Folded Reload
	;; [unrolled: 1-line block ×6, first 2 shown]
	scratch_load_dwordx2 v[10:11], off, s33 offset:712 ; 8-byte Folded Reload
	v_readlane_b32 s14, v61, 45
	v_readlane_b32 s16, v61, 47
	;; [unrolled: 1-line block ×4, first 2 shown]
	v_accvgpr_read_b32 v16, a50
	v_readlane_b32 s15, v61, 46
	v_readlane_b32 s17, v61, 48
	;; [unrolled: 1-line block ×4, first 2 shown]
	v_accvgpr_read_b32 v17, a51
.LBB0_249:                              ;   in Loop: Header=BB0_225 Depth=1
	s_or_b64 exec, exec, s[2:3]
	scratch_store_dwordx2 off, v[0:1], s33 offset:772 ; 8-byte Folded Spill
	scratch_load_dwordx2 v[6:7], off, s33 offset:860 ; 8-byte Folded Reload
	s_nop 0
	scratch_load_dwordx2 v[0:1], off, s33 offset:1024 ; 8-byte Folded Reload
	scratch_load_dwordx2 v[2:3], off, s33 offset:744 ; 8-byte Folded Reload
	s_waitcnt vmcnt(0)
	v_mul_f64 v[0:1], v[0:1], v[2:3]
	v_add_f64 v[2:3], v[0:1], v[0:1]
	scratch_load_dwordx2 v[0:1], off, s33 offset:976 ; 8-byte Folded Reload
	s_waitcnt vmcnt(0)
	v_fmac_f64_e32 v[2:3], v[0:1], v[6:7]
	scratch_load_dwordx2 v[0:1], off, s33 offset:884 ; 8-byte Folded Reload
	s_waitcnt vmcnt(0)
	scratch_store_dwordx2 off, v[0:1], s33 offset:320
	s_mov_b64 s[0:1], exec
	v_readlane_b32 s2, v61, 18
	v_readlane_b32 s3, v61, 19
	s_and_b64 s[2:3], s[0:1], s[2:3]
	s_mov_b64 exec, s[2:3]
	s_cbranch_execz .LBB0_251
; %bb.250:                              ;   in Loop: Header=BB0_225 Depth=1
	scratch_load_dwordx2 v[0:1], off, s33 offset:884 ; 8-byte Folded Reload
	s_waitcnt vmcnt(0)
	v_mul_f64 v[0:1], v[0:1], v[2:3]
	scratch_store_dwordx2 off, v[0:1], s33 offset:376
.LBB0_251:                              ;   in Loop: Header=BB0_225 Depth=1
	s_or_b64 exec, exec, s[0:1]
	scratch_load_dwordx2 v[0:1], off, s33 offset:992 ; 8-byte Folded Reload
	scratch_load_dwordx2 v[4:5], off, s33 offset:744 ; 8-byte Folded Reload
	s_waitcnt vmcnt(0)
	v_mul_f64 v[0:1], v[0:1], v[4:5]
	scratch_load_dwordx2 v[4:5], off, s33 offset:952 ; 8-byte Folded Reload
	v_add_f64 v[0:1], v[0:1], v[0:1]
	s_waitcnt vmcnt(0)
	v_fmac_f64_e32 v[0:1], v[4:5], v[6:7]
	s_mov_b64 s[0:1], exec
	v_readlane_b32 s2, v61, 20
	v_readlane_b32 s3, v61, 21
	s_and_b64 s[2:3], s[0:1], s[2:3]
	s_mov_b64 exec, s[2:3]
	s_cbranch_execz .LBB0_253
; %bb.252:                              ;   in Loop: Header=BB0_225 Depth=1
	scratch_load_dwordx2 v[4:5], off, s33 offset:884 ; 8-byte Folded Reload
	s_waitcnt vmcnt(0)
	v_mul_f64 v[4:5], v[4:5], v[0:1]
	scratch_store_dwordx2 off, v[4:5], s33 offset:328
.LBB0_253:                              ;   in Loop: Header=BB0_225 Depth=1
	s_or_b64 exec, exec, s[0:1]
	s_mov_b64 s[0:1], exec
	scratch_load_dwordx2 v[40:41], off, s33 offset:868 ; 8-byte Folded Reload
	v_readlane_b32 s2, v61, 16
	v_readlane_b32 s3, v61, 17
	s_and_b64 s[2:3], s[0:1], s[2:3]
	s_mov_b64 exec, s[2:3]
	s_cbranch_execz .LBB0_256
; %bb.254:                              ;   in Loop: Header=BB0_225 Depth=1
	scratch_load_dwordx2 v[4:5], off, s33 offset:376
	s_add_i32 s2, s33, 0x140
	s_mov_b32 s4, s2
	s_mov_b32 s5, 1
	s_mov_b64 s[2:3], 0
.LBB0_255:                              ;   Parent Loop BB0_225 Depth=1
                                        ; =>  This Inner Loop Header: Depth=2
	scratch_load_dwordx2 v[8:9], off, s4
	v_cvt_f64_i32_e32 v[6:7], s5
	s_waitcnt vmcnt(2)
	v_mul_f64 v[6:7], v[40:41], v[6:7]
	s_add_i32 s5, s5, 1
	s_add_i32 s6, s4, 0x70
	;; [unrolled: 1-line block ×3, first 2 shown]
	v_cmp_eq_u32_e32 vcc, s5, v14
	s_or_b64 s[2:3], vcc, s[2:3]
	s_waitcnt vmcnt(0)
	v_mul_f64 v[6:7], v[8:9], v[6:7]
	v_fmac_f64_e32 v[6:7], v[2:3], v[4:5]
	v_mov_b64_e32 v[4:5], v[6:7]
	scratch_store_dwordx2 off, v[6:7], s6
	s_andn2_b64 exec, exec, s[2:3]
	s_cbranch_execnz .LBB0_255
.LBB0_256:                              ;   in Loop: Header=BB0_225 Depth=1
	s_or_b64 exec, exec, s[0:1]
	s_and_saveexec_b64 s[0:1], s[16:17]
	s_cbranch_execz .LBB0_259
; %bb.257:                              ;   in Loop: Header=BB0_225 Depth=1
	scratch_load_dwordx2 v[2:3], off, s33 offset:328
	s_add_i32 s2, s33, 0x140
	s_mov_b32 s4, s2
	s_mov_b32 s5, 1
	s_mov_b64 s[2:3], 0
.LBB0_258:                              ;   Parent Loop BB0_225 Depth=1
                                        ; =>  This Inner Loop Header: Depth=2
	scratch_load_dwordx2 v[6:7], off, s4
	v_cvt_f64_i32_e32 v[4:5], s5
	v_mul_f64 v[4:5], v[10:11], v[4:5]
	s_add_i32 s5, s5, 1
	s_add_i32 s6, s4, 16
	;; [unrolled: 1-line block ×3, first 2 shown]
	v_cmp_eq_u32_e32 vcc, s5, v15
	s_or_b64 s[2:3], vcc, s[2:3]
	s_waitcnt vmcnt(0)
	v_mul_f64 v[4:5], v[6:7], v[4:5]
	v_fmac_f64_e32 v[4:5], v[0:1], v[2:3]
	v_mov_b64_e32 v[2:3], v[4:5]
	scratch_store_dwordx2 off, v[4:5], s6
	s_andn2_b64 exec, exec, s[2:3]
	s_cbranch_execnz .LBB0_258
.LBB0_259:                              ;   in Loop: Header=BB0_225 Depth=1
	s_or_b64 exec, exec, s[0:1]
	s_mov_b64 s[0:1], exec
	v_readlane_b32 s2, v61, 22
	v_readlane_b32 s3, v61, 23
	s_and_b64 s[2:3], s[0:1], s[2:3]
	s_mov_b64 exec, s[2:3]
	s_cbranch_execz .LBB0_265
; %bb.260:                              ;   in Loop: Header=BB0_225 Depth=1
	s_mov_b32 s9, 1
	s_mov_b64 s[2:3], 0
	v_mov_b64_e32 v[2:3], 1.0
	v_readlane_b32 s8, v61, 44
	s_branch .LBB0_262
.LBB0_261:                              ;   in Loop: Header=BB0_262 Depth=2
	s_or_b64 exec, exec, s[4:5]
	s_add_i32 s4, s9, 1
	s_add_i32 s8, s8, 56
	v_cmp_eq_u32_e32 vcc, s9, v14
	v_add_f64 v[2:3], v[2:3], 1.0
	s_or_b64 s[2:3], vcc, s[2:3]
	s_mov_b32 s9, s4
	s_andn2_b64 exec, exec, s[2:3]
	s_cbranch_execz .LBB0_265
.LBB0_262:                              ;   Parent Loop BB0_225 Depth=1
                                        ; =>  This Loop Header: Depth=2
                                        ;       Child Loop BB0_264 Depth 3
	s_mul_i32 s4, s9, 56
	s_add_i32 s5, s33, s4
	s_add_i32 s4, s5, 0x140
	;; [unrolled: 1-line block ×3, first 2 shown]
	scratch_load_dwordx2 v[6:7], off, s4
	scratch_load_dwordx2 v[8:9], off, s5
	scratch_load_dwordx2 v[4:5], off, s33 offset:744 ; 8-byte Folded Reload
	s_waitcnt vmcnt(2)
	v_mul_f64 v[6:7], v[0:1], v[6:7]
	s_waitcnt vmcnt(0)
	v_mul_f64 v[4:5], v[4:5], v[2:3]
	v_fmac_f64_e32 v[6:7], v[8:9], v[4:5]
	scratch_store_dwordx2 off, v[6:7], s4 offset:8
	s_and_saveexec_b64 s[4:5], s[16:17]
	s_cbranch_execz .LBB0_261
; %bb.263:                              ;   in Loop: Header=BB0_262 Depth=2
	s_mov_b32 s10, 1
	s_mov_b64 s[6:7], 0
	s_mov_b32 s11, s8
.LBB0_264:                              ;   Parent Loop BB0_225 Depth=1
                                        ;     Parent Loop BB0_262 Depth=2
                                        ; =>    This Inner Loop Header: Depth=3
	v_cvt_f64_i32_e32 v[8:9], s10
	s_add_i32 s12, s11, -16
	s_waitcnt vmcnt(1)
	v_mul_f64 v[8:9], v[10:11], v[8:9]
	scratch_load_dwordx2 v[10:11], off, s12
	s_add_i32 s12, s11, 0xffffffc0
	s_add_i32 s10, s10, 1
	v_cmp_eq_u32_e32 vcc, s10, v15
	s_waitcnt vmcnt(0)
	v_mul_f64 v[8:9], v[10:11], v[8:9]
	scratch_load_dwordx2 v[10:11], off, s12
	s_waitcnt vmcnt(0)
	v_fmac_f64_e32 v[8:9], v[4:5], v[10:11]
	scratch_load_dwordx2 v[10:11], off, s33 offset:712 ; 8-byte Folded Reload
	v_fmac_f64_e32 v[8:9], v[0:1], v[6:7]
	scratch_store_dwordx2 off, v[8:9], s11
	s_add_i32 s11, s11, 8
	s_or_b64 s[6:7], vcc, s[6:7]
	v_mov_b64_e32 v[6:7], v[8:9]
	s_andn2_b64 exec, exec, s[6:7]
	s_cbranch_execnz .LBB0_264
	s_branch .LBB0_261
.LBB0_265:                              ;   in Loop: Header=BB0_225 Depth=1
	s_or_b64 exec, exec, s[0:1]
	v_accvgpr_write_b32 a58, 0
	v_accvgpr_write_b32 a59, 0
	s_mov_b64 s[2:3], exec
	v_readlane_b32 s0, v61, 24
	v_readlane_b32 s1, v61, 25
	v_accvgpr_write_b32 a45, v27
	v_accvgpr_write_b32 a55, v29
	;; [unrolled: 1-line block ×12, first 2 shown]
	s_and_b64 s[0:1], s[2:3], s[0:1]
	v_accvgpr_write_b32 a44, v26
	v_accvgpr_write_b32 a54, v28
	;; [unrolled: 1-line block ×12, first 2 shown]
	scratch_store_dwordx2 off, v[24:25], s33 offset:720 ; 8-byte Folded Spill
	scratch_store_dwordx2 off, v[16:17], s33 offset:752 ; 8-byte Folded Spill
	;; [unrolled: 1-line block ×3, first 2 shown]
	s_mov_b64 exec, s[0:1]
	s_cbranch_execz .LBB0_273
; %bb.266:                              ;   in Loop: Header=BB0_225 Depth=1
	scratch_load_dword v45, off, s33 offset:1060 ; 4-byte Folded Reload
	v_writelane_b32 v61, s2, 59
	v_accvgpr_write_b32 a58, 0
	v_accvgpr_write_b32 a59, 0
	v_writelane_b32 v61, s3, 60
	s_mov_b32 s86, 0
	s_mov_b64 s[2:3], 0
	s_branch .LBB0_268
.LBB0_267:                              ;   in Loop: Header=BB0_268 Depth=2
	s_or_b64 exec, exec, s[2:3]
	scratch_load_dword v31, off, s33 offset:768 ; 4-byte Folded Reload
	scratch_load_dword v44, off, s33 offset:784 ; 4-byte Folded Reload
	s_getpc_b64 s[0:1]
	s_add_u32 s0, s0, _Z13cuda_binomialii@rel32@lo+4
	s_addc_u32 s1, s1, _Z13cuda_binomialii@rel32@hi+12
	s_mov_b64 s[4:5], s[92:93]
	s_mov_b64 s[6:7], s[90:91]
	;; [unrolled: 1-line block ×4, first 2 shown]
	s_mov_b32 s12, s69
	s_mov_b32 s13, s99
	;; [unrolled: 1-line block ×4, first 2 shown]
	v_mov_b32_e32 v1, s86
	s_waitcnt vmcnt(0)
	v_mov_b32_e32 v0, v44
	s_swappc_b64 s[30:31], s[0:1]
	v_subrev_u32_e32 v1, s86, v44
	v_readlane_b32 s0, v61, 28
	v_cvt_f64_i32_e32 v[2:3], v1
	v_readlane_b32 s1, v61, 29
	scratch_load_dwordx2 v[24:25], off, s33 offset:720 ; 8-byte Folded Reload
	s_mov_b32 s50, s34
	v_cndmask_b32_e64 v5, v3, v60, s[0:1]
	v_cndmask_b32_e64 v4, v2, 0, s[0:1]
	scratch_load_dwordx2 v[2:3], off, s33 offset:800 ; 8-byte Folded Reload
	v_cmp_neq_f64_e32 vcc, 0, v[4:5]
	s_mov_b32 s0, 0x4222de17
	s_mov_b32 s1, 0x3fbdee67
	;; [unrolled: 1-line block ×4, first 2 shown]
	v_mov_b32_e32 v48, 0x7ff00000
	v_mov_b32_e32 v49, 0x7ff80000
	v_cmp_gt_f64_e64 s[2:3], 0, v[4:5]
	v_accvgpr_read_b32 v26, a44
	v_accvgpr_read_b32 v28, a54
	;; [unrolled: 1-line block ×10, first 2 shown]
	s_mov_b64 s[92:93], s[70:71]
	s_mov_b64 s[90:91], s[48:49]
	;; [unrolled: 1-line block ×4, first 2 shown]
	v_accvgpr_read_b32 v27, a45
	v_accvgpr_read_b32 v29, a55
	;; [unrolled: 1-line block ×10, first 2 shown]
	v_add_u32_e32 v45, 8, v45
	s_waitcnt vmcnt(0)
	v_cndmask_b32_e32 v3, v60, v3, vcc
	v_cndmask_b32_e32 v2, 0, v2, vcc
	v_frexp_mant_f64_e64 v[6:7], |v[2:3]|
	v_cmp_gt_f64_e32 vcc, s[34:35], v[6:7]
	v_cmp_class_f64_e64 s[4:5], v[2:3], s80
	s_nop 0
	v_cndmask_b32_e64 v1, 0, 1, vcc
	v_ldexp_f64 v[6:7], v[6:7], v1
	v_add_f64 v[8:9], v[6:7], 1.0
	v_rcp_f64_e32 v[10:11], v[8:9]
	v_add_f64 v[14:15], v[8:9], -1.0
	v_add_f64 v[12:13], v[6:7], -1.0
	v_add_f64 v[6:7], v[6:7], -v[14:15]
	v_fma_f64 v[14:15], -v[8:9], v[10:11], 1.0
	v_fmac_f64_e32 v[10:11], v[14:15], v[10:11]
	v_fma_f64 v[14:15], -v[8:9], v[10:11], 1.0
	v_fmac_f64_e32 v[10:11], v[14:15], v[10:11]
	v_mul_f64 v[14:15], v[12:13], v[10:11]
	v_mul_f64 v[16:17], v[8:9], v[14:15]
	v_fma_f64 v[8:9], v[14:15], v[8:9], -v[16:17]
	v_fmac_f64_e32 v[8:9], v[14:15], v[6:7]
	v_add_f64 v[6:7], v[16:17], v[8:9]
	v_add_f64 v[18:19], v[12:13], -v[6:7]
	v_add_f64 v[16:17], v[6:7], -v[16:17]
	;; [unrolled: 1-line block ×5, first 2 shown]
	v_add_f64 v[6:7], v[8:9], v[6:7]
	v_add_f64 v[6:7], v[18:19], v[6:7]
	v_mul_f64 v[6:7], v[10:11], v[6:7]
	v_add_f64 v[8:9], v[14:15], v[6:7]
	v_add_f64 v[10:11], v[8:9], -v[14:15]
	v_add_f64 v[6:7], v[6:7], -v[10:11]
	v_mul_f64 v[10:11], v[8:9], v[8:9]
	v_fma_f64 v[14:15], v[8:9], v[8:9], -v[10:11]
	v_add_f64 v[12:13], v[6:7], v[6:7]
	v_fmac_f64_e32 v[14:15], v[8:9], v[12:13]
	v_add_f64 v[12:13], v[10:11], v[14:15]
	v_add_f64 v[10:11], v[12:13], -v[10:11]
	v_add_f64 v[10:11], v[14:15], -v[10:11]
	v_mov_b64_e32 v[14:15], v[24:25]
	v_accvgpr_read_b32 v16, a44
	v_fmac_f64_e32 v[14:15], s[0:1], v[12:13]
	v_accvgpr_read_b32 v17, a45
	v_fmac_f64_e32 v[16:17], v[12:13], v[14:15]
	v_accvgpr_read_b32 v14, a54
	v_accvgpr_read_b32 v15, a55
	v_fmac_f64_e32 v[14:15], v[12:13], v[16:17]
	v_accvgpr_read_b32 v16, a40
	;; [unrolled: 3-line block ×6, first 2 shown]
	v_accvgpr_read_b32 v17, a39
	v_fmac_f64_e32 v[16:17], v[12:13], v[14:15]
	v_mul_f64 v[14:15], v[8:9], v[12:13]
	v_fma_f64 v[18:19], v[12:13], v[8:9], -v[14:15]
	v_mul_f64 v[20:21], v[12:13], v[16:17]
	v_fmac_f64_e32 v[18:19], v[12:13], v[6:7]
	v_fma_f64 v[12:13], v[12:13], v[16:17], -v[20:21]
	v_fmac_f64_e32 v[12:13], v[10:11], v[16:17]
	v_fmac_f64_e32 v[18:19], v[10:11], v[8:9]
	v_add_f64 v[10:11], v[20:21], v[12:13]
	v_add_f64 v[16:17], v[10:11], -v[20:21]
	v_add_f64 v[12:13], v[12:13], -v[16:17]
	v_add_f64 v[16:17], v[10:11], s[34:35]
	s_mov_b32 s0, 0xd5df274d
	v_add_f64 v[20:21], v[16:17], s[50:51]
	s_mov_b32 s1, 0x3c8543b0
	v_add_f64 v[10:11], v[10:11], -v[20:21]
	v_add_f64 v[12:13], v[12:13], s[0:1]
	v_add_f64 v[10:11], v[12:13], v[10:11]
	;; [unrolled: 1-line block ×3, first 2 shown]
	v_add_f64 v[16:17], v[16:17], -v[12:13]
	v_add_f64 v[10:11], v[10:11], v[16:17]
	v_add_f64 v[16:17], v[14:15], v[18:19]
	v_mul_f64 v[20:21], v[16:17], v[12:13]
	v_fma_f64 v[22:23], v[16:17], v[12:13], -v[20:21]
	v_fmac_f64_e32 v[22:23], v[16:17], v[10:11]
	v_add_f64 v[10:11], v[16:17], -v[14:15]
	v_frexp_exp_i32_f64_e32 v1, v[2:3]
	v_add_f64 v[10:11], v[18:19], -v[10:11]
	v_subbrev_co_u32_e32 v1, vcc, 0, v1, vcc
	v_fmac_f64_e32 v[22:23], v[10:11], v[12:13]
	v_cvt_f64_i32_e32 v[10:11], v1
	v_mul_f64 v[12:13], v[10:11], s[64:65]
	v_fma_f64 v[14:15], v[10:11], s[64:65], -v[12:13]
	v_fmac_f64_e32 v[14:15], s[52:53], v[10:11]
	v_add_f64 v[10:11], v[12:13], v[14:15]
	v_add_f64 v[12:13], v[10:11], -v[12:13]
	v_add_f64 v[12:13], v[14:15], -v[12:13]
	v_add_f64 v[14:15], v[20:21], v[22:23]
	v_ldexp_f64 v[8:9], v[8:9], 1
	v_add_f64 v[16:17], v[14:15], -v[20:21]
	v_add_f64 v[18:19], v[8:9], v[14:15]
	v_add_f64 v[16:17], v[22:23], -v[16:17]
	v_add_f64 v[8:9], v[18:19], -v[8:9]
	v_ldexp_f64 v[6:7], v[6:7], 1
	v_add_f64 v[8:9], v[14:15], -v[8:9]
	v_add_f64 v[6:7], v[6:7], v[16:17]
	v_add_f64 v[6:7], v[6:7], v[8:9]
	;; [unrolled: 1-line block ×3, first 2 shown]
	v_add_f64 v[14:15], v[8:9], -v[18:19]
	v_add_f64 v[6:7], v[6:7], -v[14:15]
	v_add_f64 v[14:15], v[10:11], v[8:9]
	v_add_f64 v[16:17], v[14:15], -v[10:11]
	v_add_f64 v[18:19], v[14:15], -v[16:17]
	;; [unrolled: 1-line block ×4, first 2 shown]
	v_add_f64 v[8:9], v[8:9], v[10:11]
	v_add_f64 v[10:11], v[12:13], v[6:7]
	v_add_f64 v[16:17], v[10:11], -v[12:13]
	v_add_f64 v[18:19], v[10:11], -v[16:17]
	v_add_f64 v[8:9], v[10:11], v[8:9]
	v_add_f64 v[12:13], v[12:13], -v[18:19]
	v_add_f64 v[6:7], v[6:7], -v[16:17]
	v_add_f64 v[10:11], v[14:15], v[8:9]
	v_add_f64 v[6:7], v[6:7], v[12:13]
	v_add_f64 v[12:13], v[10:11], -v[14:15]
	v_add_f64 v[8:9], v[8:9], -v[12:13]
	v_add_f64 v[6:7], v[6:7], v[8:9]
	v_add_f64 v[8:9], v[10:11], v[6:7]
	v_add_f64 v[10:11], v[8:9], -v[10:11]
	v_add_f64 v[6:7], v[6:7], -v[10:11]
	v_mul_f64 v[10:11], v[4:5], v[8:9]
	v_fma_f64 v[8:9], v[4:5], v[8:9], -v[10:11]
	v_fmac_f64_e32 v[8:9], v[4:5], v[6:7]
	v_add_f64 v[6:7], v[10:11], v[8:9]
	v_cmp_class_f64_e64 vcc, v[10:11], s80
	s_mov_b32 s0, 0
	v_add_f64 v[12:13], v[6:7], -v[10:11]
	v_cndmask_b32_e32 v7, v7, v11, vcc
	v_cndmask_b32_e32 v6, v6, v10, vcc
	s_mov_b32 s1, 0x7ff00000
	v_cmp_neq_f64_e64 vcc, |v[6:7]|, s[0:1]
	s_mov_b32 s0, 0x652b82fe
	s_mov_b32 s1, 0x3ff71547
	v_mul_f64 v[10:11], v[6:7], s[0:1]
	v_rndne_f64_e32 v[10:11], v[10:11]
	v_add_f64 v[8:9], v[8:9], -v[12:13]
	v_fma_f64 v[12:13], s[82:83], v[10:11], v[6:7]
	v_accvgpr_read_b32 v14, a36
	s_mov_b32 s0, 0x6a5dcb37
	v_fmac_f64_e32 v[12:13], s[96:97], v[10:11]
	v_accvgpr_read_b32 v15, a37
	s_mov_b32 s1, 0x3e5ade15
	v_accvgpr_read_b32 v16, a48
	v_fmac_f64_e32 v[14:15], s[0:1], v[12:13]
	v_accvgpr_read_b32 v17, a49
	v_fmac_f64_e32 v[16:17], v[12:13], v[14:15]
	v_accvgpr_read_b32 v14, a60
	v_accvgpr_read_b32 v15, a61
	v_fmac_f64_e32 v[14:15], v[12:13], v[16:17]
	v_accvgpr_read_b32 v16, a46
	;; [unrolled: 3-line block ×3, first 2 shown]
	v_accvgpr_read_b32 v15, a43
	v_fmac_f64_e32 v[14:15], v[12:13], v[16:17]
	scratch_load_dwordx2 v[16:17], off, s33 offset:728 ; 8-byte Folded Reload
	s_mov_b32 s0, 0
	s_mov_b32 s1, 0x40900000
	v_cndmask_b32_e32 v9, 0, v9, vcc
	v_cndmask_b32_e32 v8, 0, v8, vcc
	v_cmp_nlt_f64_e32 vcc, s[0:1], v[6:7]
	s_mov_b32 s0, 0
	v_cvt_i32_f64_e32 v10, v[10:11]
	s_mov_b32 s1, 0xc090cc00
	v_cmp_ngt_f64_e64 s[0:1], s[0:1], v[6:7]
	v_cvt_f64_i32_e32 v[0:1], v0
	v_accvgpr_read_b32 v20, a36
	v_accvgpr_read_b32 v22, a48
	;; [unrolled: 1-line block ×4, first 2 shown]
	s_waitcnt vmcnt(0)
	v_fmac_f64_e32 v[16:17], v[12:13], v[14:15]
	scratch_load_dwordx2 v[14:15], off, s33 offset:752 ; 8-byte Folded Reload
	s_waitcnt vmcnt(0)
	v_fmac_f64_e32 v[14:15], v[12:13], v[16:17]
	scratch_load_dwordx2 v[16:17], off, s33 offset:760 ; 8-byte Folded Reload
	;; [unrolled: 3-line block ×3, first 2 shown]
	s_waitcnt vmcnt(0)
	v_fmac_f64_e32 v[14:15], v[12:13], v[16:17]
	v_fma_f64 v[14:15], v[12:13], v[14:15], 1.0
	v_fma_f64 v[12:13], v[12:13], v[14:15], 1.0
	v_ldexp_f64 v[10:11], v[12:13], v10
	v_cndmask_b32_e32 v11, v48, v11, vcc
	s_and_b64 vcc, s[0:1], vcc
	v_cndmask_b32_e64 v7, 0, v11, s[0:1]
	v_cndmask_b32_e32 v6, 0, v10, vcc
	v_mov_b64_e32 v[10:11], v[6:7]
	v_fmac_f64_e32 v[10:11], v[10:11], v[8:9]
	v_cmp_class_f64_e64 vcc, v[6:7], s80
	v_trunc_f64_e32 v[8:9], v[4:5]
	s_nop 0
	v_cndmask_b32_e32 v6, v10, v6, vcc
	v_cndmask_b32_e32 v7, v11, v7, vcc
	v_cmp_eq_f64_e32 vcc, v[8:9], v[4:5]
	v_mul_f64 v[8:9], v[4:5], 0.5
	v_trunc_f64_e32 v[10:11], v[8:9]
	v_cmp_neq_f64_e64 s[0:1], v[10:11], v[8:9]
	s_and_b64 s[0:1], vcc, s[0:1]
	v_cndmask_b32_e32 v9, 0, v6, vcc
	v_cndmask_b32_e64 v8, v60, v3, s[0:1]
	v_bfi_b32 v7, s81, v7, v8
	v_cndmask_b32_e32 v8, v49, v7, vcc
	v_cmp_gt_f64_e32 vcc, 0, v[2:3]
	v_cndmask_b32_e64 v5, 0, v3, s[0:1]
	s_add_i32 s0, s86, 1
	v_cndmask_b32_e32 v6, v6, v9, vcc
	v_cndmask_b32_e32 v7, v7, v8, vcc
	v_cmp_eq_f64_e32 vcc, 0, v[2:3]
	s_xor_b64 s[2:3], s[2:3], vcc
	v_cndmask_b32_e64 v4, v48, 0, s[2:3]
	v_bfi_b32 v4, s81, v4, v5
	s_or_b64 vcc, vcc, s[4:5]
	v_cndmask_b32_e32 v4, v7, v4, vcc
	v_cndmask_b32_e64 v5, v6, 0, vcc
	v_cmp_o_f64_e32 vcc, v[2:3], v[2:3]
	v_readlane_b32 s2, v61, 61
	v_readlane_b32 s3, v61, 62
	v_cndmask_b32_e32 v2, 0, v5, vcc
	v_cndmask_b32_e32 v3, v49, v4, vcc
	v_mul_f64 v[0:1], v[2:3], v[0:1]
	v_accvgpr_read_b32 v2, a58
	v_accvgpr_read_b32 v3, a59
	v_fmac_f64_e32 v[2:3], v[42:43], v[0:1]
	v_accvgpr_write_b32 a59, v3
	v_cmp_eq_u32_e32 vcc, s86, v44
	v_accvgpr_write_b32 a58, v2
	s_or_b64 s[2:3], vcc, s[2:3]
	s_mov_b32 s86, s0
	s_andn2_b64 exec, exec, s[2:3]
	s_cbranch_execz .LBB0_272
.LBB0_268:                              ;   Parent Loop BB0_225 Depth=1
                                        ; =>  This Loop Header: Depth=2
                                        ;       Child Loop BB0_270 Depth 3
	v_writelane_b32 v61, s2, 61
	v_mov_b64_e32 v[42:43], 0
	s_nop 0
	v_writelane_b32 v61, s3, 62
	s_mov_b64 s[2:3], exec
	v_readlane_b32 s0, v61, 26
	v_readlane_b32 s1, v61, 27
	s_and_b64 s[0:1], s[2:3], s[0:1]
	s_mov_b64 exec, s[0:1]
	s_cbranch_execz .LBB0_267
; %bb.269:                              ;   in Loop: Header=BB0_268 Depth=2
	s_waitcnt vmcnt(0)
	scratch_store_dword off, v45, s33 offset:816 ; 4-byte Folded Spill
	scratch_load_dword a33, off, s33 offset:852 ; 4-byte Folded Reload
	scratch_load_dword a32, off, s33 offset:768 ; 4-byte Folded Reload
	scratch_load_dwordx2 v[56:57], off, s33 offset:832 ; 8-byte Folded Reload
	scratch_load_dwordx2 a[62:63], off, s33 offset:728 ; 8-byte Folded Reload
	;; [unrolled: 1-line block ×5, first 2 shown]
	v_writelane_b32 v61, s2, 63
	v_mov_b64_e32 v[42:43], 0
	v_readlane_b32 s66, v61, 53
	v_writelane_b32 v62, s3, 0
	s_mov_b32 s87, 0
	s_mov_b64 s[54:55], 0
	v_readlane_b32 s67, v61, 54
	s_waitcnt vmcnt(6)
	v_accvgpr_read_b32 v44, a33
.LBB0_270:                              ;   Parent Loop BB0_225 Depth=1
                                        ;     Parent Loop BB0_268 Depth=2
                                        ; =>    This Inner Loop Header: Depth=3
	s_getpc_b64 s[0:1]
	s_add_u32 s0, s0, _Z13cuda_binomialii@rel32@lo+4
	s_addc_u32 s1, s1, _Z13cuda_binomialii@rel32@hi+12
	s_mov_b64 s[4:5], s[92:93]
	s_mov_b64 s[6:7], s[90:91]
	;; [unrolled: 1-line block ×4, first 2 shown]
	s_mov_b32 s12, s69
	s_mov_b32 s13, s99
	;; [unrolled: 1-line block ×4, first 2 shown]
	s_waitcnt vmcnt(5)
	v_accvgpr_read_b32 v31, a32
	v_accvgpr_read_b32 v0, a33
	v_mov_b32_e32 v1, s87
	v_mov_b32_e32 v40, v48
	;; [unrolled: 1-line block ×3, first 2 shown]
	s_swappc_b64 s[30:31], s[0:1]
	scratch_load_dwordx2 v[18:19], off, s33 offset:720 ; 8-byte Folded Reload
	v_cvt_f64_i32_e32 v[2:3], v44
	v_cndmask_b32_e64 v5, v3, v60, s[66:67]
	v_cndmask_b32_e64 v4, v2, 0, s[66:67]
	v_cmp_neq_f64_e32 vcc, 0, v[4:5]
	v_trunc_f64_e32 v[6:7], v[4:5]
	v_mul_f64 v[8:9], v[4:5], 0.5
	v_cndmask_b32_e32 v3, v60, v57, vcc
	v_cndmask_b32_e32 v2, 0, v56, vcc
	v_frexp_mant_f64_e64 v[10:11], |v[2:3]|
	v_cmp_gt_f64_e64 s[0:1], s[34:35], v[10:11]
	v_cmp_eq_f64_e32 vcc, v[6:7], v[4:5]
	v_trunc_f64_e32 v[6:7], v[8:9]
	v_cndmask_b32_e64 v1, 0, 1, s[0:1]
	v_cmp_neq_f64_e64 s[2:3], v[6:7], v[8:9]
	v_ldexp_f64 v[6:7], v[10:11], v1
	v_add_f64 v[10:11], v[6:7], 1.0
	v_rcp_f64_e32 v[12:13], v[10:11]
	v_add_f64 v[14:15], v[10:11], -1.0
	v_add_f64 v[8:9], v[6:7], -1.0
	v_add_f64 v[6:7], v[6:7], -v[14:15]
	v_fma_f64 v[14:15], -v[10:11], v[12:13], 1.0
	v_fmac_f64_e32 v[12:13], v[14:15], v[12:13]
	v_fma_f64 v[14:15], -v[10:11], v[12:13], 1.0
	v_fmac_f64_e32 v[12:13], v[14:15], v[12:13]
	v_mul_f64 v[14:15], v[8:9], v[12:13]
	v_mul_f64 v[16:17], v[10:11], v[14:15]
	v_fma_f64 v[10:11], v[14:15], v[10:11], -v[16:17]
	v_fmac_f64_e32 v[10:11], v[14:15], v[6:7]
	v_add_f64 v[6:7], v[16:17], v[10:11]
	v_add_f64 v[16:17], v[6:7], -v[16:17]
	v_add_f64 v[10:11], v[16:17], -v[10:11]
	;; [unrolled: 1-line block ×5, first 2 shown]
	v_add_f64 v[6:7], v[10:11], v[6:7]
	v_add_f64 v[6:7], v[16:17], v[6:7]
	v_mul_f64 v[6:7], v[12:13], v[6:7]
	v_add_f64 v[8:9], v[14:15], v[6:7]
	v_add_f64 v[10:11], v[8:9], -v[14:15]
	v_mul_f64 v[12:13], v[8:9], v[8:9]
	v_add_f64 v[6:7], v[6:7], -v[10:11]
	v_fma_f64 v[10:11], v[8:9], v[8:9], -v[12:13]
	v_add_f64 v[14:15], v[6:7], v[6:7]
	v_fmac_f64_e32 v[10:11], v[8:9], v[14:15]
	v_add_f64 v[14:15], v[12:13], v[10:11]
	s_mov_b32 s4, 0x4222de17
	v_add_f64 v[12:13], v[14:15], -v[12:13]
	s_mov_b32 s5, 0x3fbdee67
	v_add_f64 v[10:11], v[10:11], -v[12:13]
	v_accvgpr_read_b32 v12, a44
	v_accvgpr_read_b32 v13, a45
	;; [unrolled: 1-line block ×4, first 2 shown]
	s_mov_b32 s14, 0xd5df274d
	s_mov_b32 s50, s34
	s_mov_b32 s15, 0x3c8543b0
	v_frexp_exp_i32_f64_e32 v1, v[2:3]
	v_subbrev_co_u32_e64 v1, s[0:1], 0, v1, s[0:1]
	s_and_b64 s[2:3], vcc, s[2:3]
	s_mov_b32 s6, 0x652b82fe
	s_mov_b32 s7, 0x3ff71547
	s_mov_b32 s16, 0
	s_mov_b32 s82, s64
	s_mov_b32 s17, 0x7ff00000
	s_mov_b32 s8, 0x6a5dcb37
	s_mov_b32 s96, s52
	s_mov_b32 s9, 0x3e5ade15
	s_mov_b32 s12, 0
	s_mov_b32 s10, 0
	v_cmp_eq_f64_e64 s[0:1], 0, v[2:3]
	v_mov_b32_e32 v48, v40
	s_mov_b32 s13, 0xc090cc00
	s_mov_b32 s11, 0x40900000
	v_mov_b32_e32 v49, v41
	v_add_u32_e32 v44, -1, v44
	s_add_i32 s87, s87, 1
	s_mov_b64 s[92:93], s[70:71]
	s_mov_b64 s[90:91], s[48:49]
	s_waitcnt vmcnt(0)
	v_fmac_f64_e32 v[18:19], s[4:5], v[14:15]
	v_fmac_f64_e32 v[12:13], v[14:15], v[18:19]
	;; [unrolled: 1-line block ×3, first 2 shown]
	v_accvgpr_read_b32 v12, a40
	v_accvgpr_read_b32 v13, a41
	v_fmac_f64_e32 v[12:13], v[14:15], v[16:17]
	v_accvgpr_read_b32 v16, a34
	v_accvgpr_read_b32 v17, a35
	v_fmac_f64_e32 v[16:17], v[14:15], v[12:13]
	;; [unrolled: 3-line block ×5, first 2 shown]
	v_mul_f64 v[16:17], v[8:9], v[14:15]
	v_fma_f64 v[18:19], v[14:15], v[8:9], -v[16:17]
	v_mul_f64 v[20:21], v[14:15], v[12:13]
	v_fmac_f64_e32 v[18:19], v[14:15], v[6:7]
	v_fma_f64 v[14:15], v[14:15], v[12:13], -v[20:21]
	v_fmac_f64_e32 v[14:15], v[10:11], v[12:13]
	v_fmac_f64_e32 v[18:19], v[10:11], v[8:9]
	v_add_f64 v[10:11], v[20:21], v[14:15]
	v_add_f64 v[12:13], v[10:11], -v[20:21]
	v_add_f64 v[12:13], v[14:15], -v[12:13]
	v_add_f64 v[14:15], v[10:11], s[34:35]
	v_add_f64 v[20:21], v[14:15], s[50:51]
	v_add_f64 v[10:11], v[10:11], -v[20:21]
	v_add_f64 v[12:13], v[12:13], s[14:15]
	v_add_f64 v[10:11], v[12:13], v[10:11]
	;; [unrolled: 1-line block ×3, first 2 shown]
	v_add_f64 v[14:15], v[14:15], -v[12:13]
	v_add_f64 v[10:11], v[10:11], v[14:15]
	v_add_f64 v[14:15], v[16:17], v[18:19]
	v_mul_f64 v[20:21], v[14:15], v[12:13]
	v_fma_f64 v[22:23], v[14:15], v[12:13], -v[20:21]
	v_fmac_f64_e32 v[22:23], v[14:15], v[10:11]
	v_add_f64 v[10:11], v[14:15], -v[16:17]
	v_add_f64 v[10:11], v[18:19], -v[10:11]
	v_fmac_f64_e32 v[22:23], v[10:11], v[12:13]
	v_cvt_f64_i32_e32 v[10:11], v1
	v_mul_f64 v[12:13], v[10:11], s[64:65]
	v_fma_f64 v[14:15], v[10:11], s[64:65], -v[12:13]
	v_fmac_f64_e32 v[14:15], s[52:53], v[10:11]
	v_add_f64 v[10:11], v[12:13], v[14:15]
	v_add_f64 v[12:13], v[10:11], -v[12:13]
	v_add_f64 v[12:13], v[14:15], -v[12:13]
	v_add_f64 v[14:15], v[20:21], v[22:23]
	v_ldexp_f64 v[8:9], v[8:9], 1
	v_add_f64 v[16:17], v[14:15], -v[20:21]
	v_add_f64 v[18:19], v[8:9], v[14:15]
	v_add_f64 v[16:17], v[22:23], -v[16:17]
	v_add_f64 v[8:9], v[18:19], -v[8:9]
	v_ldexp_f64 v[6:7], v[6:7], 1
	v_add_f64 v[8:9], v[14:15], -v[8:9]
	v_add_f64 v[6:7], v[6:7], v[16:17]
	v_add_f64 v[6:7], v[6:7], v[8:9]
	;; [unrolled: 1-line block ×3, first 2 shown]
	v_add_f64 v[14:15], v[8:9], -v[18:19]
	v_add_f64 v[16:17], v[10:11], v[8:9]
	v_add_f64 v[6:7], v[6:7], -v[14:15]
	v_add_f64 v[14:15], v[16:17], -v[10:11]
	;; [unrolled: 1-line block ×5, first 2 shown]
	v_add_f64 v[14:15], v[12:13], v[6:7]
	v_add_f64 v[8:9], v[8:9], v[10:11]
	v_add_f64 v[10:11], v[14:15], -v[12:13]
	v_add_f64 v[6:7], v[6:7], -v[10:11]
	;; [unrolled: 1-line block ×4, first 2 shown]
	v_add_f64 v[8:9], v[14:15], v[8:9]
	v_add_f64 v[6:7], v[6:7], v[10:11]
	;; [unrolled: 1-line block ×3, first 2 shown]
	v_add_f64 v[16:17], v[10:11], -v[16:17]
	v_add_f64 v[8:9], v[8:9], -v[16:17]
	v_add_f64 v[6:7], v[6:7], v[8:9]
	v_add_f64 v[8:9], v[10:11], v[6:7]
	v_add_f64 v[10:11], v[8:9], -v[10:11]
	v_add_f64 v[6:7], v[6:7], -v[10:11]
	v_mul_f64 v[10:11], v[4:5], v[8:9]
	v_fma_f64 v[18:19], v[4:5], v[8:9], -v[10:11]
	v_fmac_f64_e32 v[18:19], v[4:5], v[6:7]
	v_cmp_gt_f64_e64 s[4:5], 0, v[4:5]
	v_cndmask_b32_e64 v13, v60, v3, s[2:3]
	v_cndmask_b32_e64 v12, 0, v3, s[2:3]
	v_add_f64 v[4:5], v[10:11], v[18:19]
	v_cmp_class_f64_e64 s[2:3], v[10:11], s80
	v_accvgpr_read_b32 v14, a36
	v_accvgpr_read_b32 v15, a37
	v_cndmask_b32_e64 v9, v5, v11, s[2:3]
	v_cndmask_b32_e64 v8, v4, v10, s[2:3]
	v_add_f64 v[4:5], v[4:5], -v[10:11]
	v_mul_f64 v[10:11], v[8:9], s[6:7]
	v_rndne_f64_e32 v[10:11], v[10:11]
	v_add_f64 v[4:5], v[18:19], -v[4:5]
	v_fma_f64 v[18:19], s[82:83], v[10:11], v[8:9]
	v_accvgpr_read_b32 v16, a48
	v_cmp_neq_f64_e64 s[2:3], |v[8:9]|, s[16:17]
	v_fmac_f64_e32 v[18:19], s[96:97], v[10:11]
	v_accvgpr_read_b32 v17, a49
	v_cndmask_b32_e64 v7, 0, v5, s[2:3]
	v_cndmask_b32_e64 v6, 0, v4, s[2:3]
	v_fmac_f64_e32 v[14:15], s[8:9], v[18:19]
	v_accvgpr_read_b32 v4, a60
	v_fmac_f64_e32 v[16:17], v[18:19], v[14:15]
	v_accvgpr_read_b32 v5, a61
	v_accvgpr_read_b32 v14, a46
	v_fmac_f64_e32 v[4:5], v[18:19], v[16:17]
	v_accvgpr_read_b32 v15, a47
	v_fmac_f64_e32 v[14:15], v[18:19], v[4:5]
	v_accvgpr_read_b32 v4, a42
	v_accvgpr_read_b32 v5, a43
	v_fmac_f64_e32 v[4:5], v[18:19], v[14:15]
	v_accvgpr_read_b32 v14, a62
	;; [unrolled: 3-line block ×3, first 2 shown]
	v_accvgpr_read_b32 v5, a51
	v_fmac_f64_e32 v[4:5], v[18:19], v[14:15]
	v_mov_b64_e32 v[14:15], v[46:47]
	v_fmac_f64_e32 v[14:15], v[18:19], v[4:5]
	scratch_load_dwordx2 v[4:5], v45, off
	v_mov_b64_e32 v[16:17], v[58:59]
	v_fmac_f64_e32 v[16:17], v[18:19], v[14:15]
	v_cvt_i32_f64_e32 v14, v[10:11]
	v_fma_f64 v[10:11], v[18:19], v[16:17], 1.0
	s_xor_b64 s[4:5], s[4:5], s[0:1]
	v_fma_f64 v[10:11], v[18:19], v[10:11], 1.0
	v_cndmask_b32_e64 v1, v48, 0, s[4:5]
	v_ldexp_f64 v[10:11], v[10:11], v14
	v_cmp_nlt_f64_e64 s[4:5], s[10:11], v[8:9]
	v_cmp_ngt_f64_e64 s[6:7], s[12:13], v[8:9]
	v_cmp_class_f64_e64 s[8:9], v[2:3], s80
	v_cndmask_b32_e64 v11, v48, v11, s[4:5]
	s_and_b64 s[4:5], s[6:7], s[4:5]
	v_cndmask_b32_e64 v9, 0, v11, s[6:7]
	v_cndmask_b32_e64 v8, 0, v10, s[4:5]
	v_mov_b64_e32 v[10:11], v[8:9]
	v_fmac_f64_e32 v[10:11], v[10:11], v[6:7]
	v_cmp_class_f64_e64 s[4:5], v[8:9], s80
	v_bfi_b32 v12, s81, v1, v12
	v_cvt_f64_i32_e32 v[0:1], v0
	v_cndmask_b32_e64 v7, v11, v9, s[4:5]
	v_cndmask_b32_e64 v6, v10, v8, s[4:5]
	v_bfi_b32 v7, s81, v7, v13
	v_cndmask_b32_e32 v8, v49, v7, vcc
	v_cndmask_b32_e32 v9, 0, v6, vcc
	v_cmp_gt_f64_e32 vcc, 0, v[2:3]
	v_cmp_eq_u32_e64 s[2:3], -1, v44
	s_mov_b64 s[88:89], s[38:39]
	v_cndmask_b32_e32 v6, v6, v9, vcc
	v_cndmask_b32_e32 v7, v7, v8, vcc
	s_or_b64 vcc, s[0:1], s[8:9]
	v_cndmask_b32_e32 v7, v7, v12, vcc
	v_cndmask_b32_e64 v6, v6, 0, vcc
	v_cmp_o_f64_e32 vcc, v[2:3], v[2:3]
	s_mov_b64 s[78:79], s[36:37]
	v_add_u32_e32 v45, 56, v45
	v_cndmask_b32_e32 v2, 0, v6, vcc
	v_cndmask_b32_e32 v3, v49, v7, vcc
	v_mul_f64 v[0:1], v[2:3], v[0:1]
	s_or_b64 s[54:55], s[2:3], s[54:55]
	s_waitcnt vmcnt(0)
	v_fmac_f64_e32 v[42:43], v[4:5], v[0:1]
	s_andn2_b64 exec, exec, s[54:55]
	s_cbranch_execnz .LBB0_270
; %bb.271:                              ;   in Loop: Header=BB0_268 Depth=2
	s_or_b64 exec, exec, s[54:55]
	scratch_load_dword v45, off, s33 offset:816 ; 4-byte Folded Reload
	v_readlane_b32 s2, v61, 63
	v_readlane_b32 s3, v62, 0
	s_branch .LBB0_267
.LBB0_272:                              ;   in Loop: Header=BB0_225 Depth=1
	s_or_b64 exec, exec, s[2:3]
	scratch_load_dword v12, off, s33 offset:908 ; 4-byte Folded Reload
	scratch_load_dword v13, off, s33 offset:912 ; 4-byte Folded Reload
	scratch_load_dword v14, off, s33 offset:916 ; 4-byte Folded Reload
	scratch_load_dword v15, off, s33 offset:920 ; 4-byte Folded Reload
	scratch_load_dword v18, off, s33 offset:924 ; 4-byte Folded Reload
	scratch_load_dword v19, off, s33 offset:928 ; 4-byte Folded Reload
	scratch_load_dwordx2 v[16:17], off, s33 offset:752 ; 8-byte Folded Reload
	scratch_load_dwordx2 v[46:47], off, s33 offset:760 ; 8-byte Folded Reload
	;; [unrolled: 1-line block ×3, first 2 shown]
	v_readlane_b32 s14, v61, 45
	v_readlane_b32 s16, v61, 47
	;; [unrolled: 1-line block ×8, first 2 shown]
.LBB0_273:                              ;   in Loop: Header=BB0_225 Depth=1
	s_or_b64 exec, exec, s[2:3]
	scratch_store_dwordx2 off, a[58:59], s33 offset:816 ; 8-byte Folded Spill
	scratch_load_dwordx2 v[6:7], off, s33 offset:860 ; 8-byte Folded Reload
	scratch_load_dwordx2 v[0:1], off, s33 offset:1048 ; 8-byte Folded Reload
	;; [unrolled: 1-line block ×3, first 2 shown]
	s_waitcnt vmcnt(0)
	v_mul_f64 v[0:1], v[0:1], v[2:3]
	v_add_f64 v[2:3], v[0:1], v[0:1]
	scratch_load_dwordx2 v[0:1], off, s33 offset:1016 ; 8-byte Folded Reload
	s_waitcnt vmcnt(0)
	v_fmac_f64_e32 v[2:3], v[0:1], v[6:7]
	scratch_load_dwordx2 v[0:1], off, s33 offset:892 ; 8-byte Folded Reload
	s_waitcnt vmcnt(0)
	scratch_store_dwordx2 off, v[0:1], s33 offset:320
	s_mov_b64 s[0:1], exec
	v_readlane_b32 s2, v61, 32
	v_readlane_b32 s3, v61, 33
	s_and_b64 s[2:3], s[0:1], s[2:3]
	s_mov_b64 exec, s[2:3]
	s_cbranch_execz .LBB0_275
; %bb.274:                              ;   in Loop: Header=BB0_225 Depth=1
	scratch_load_dwordx2 v[0:1], off, s33 offset:892 ; 8-byte Folded Reload
	s_waitcnt vmcnt(0)
	v_mul_f64 v[0:1], v[0:1], v[2:3]
	scratch_store_dwordx2 off, v[0:1], s33 offset:376
.LBB0_275:                              ;   in Loop: Header=BB0_225 Depth=1
	s_or_b64 exec, exec, s[0:1]
	scratch_load_dwordx2 v[0:1], off, s33 offset:1032 ; 8-byte Folded Reload
	scratch_load_dwordx2 v[4:5], off, s33 offset:744 ; 8-byte Folded Reload
	s_waitcnt vmcnt(0)
	v_mul_f64 v[0:1], v[0:1], v[4:5]
	scratch_load_dwordx2 v[4:5], off, s33 offset:960 ; 8-byte Folded Reload
	v_add_f64 v[0:1], v[0:1], v[0:1]
	s_waitcnt vmcnt(0)
	v_fmac_f64_e32 v[0:1], v[4:5], v[6:7]
	s_mov_b64 s[0:1], exec
	v_readlane_b32 s2, v61, 34
	v_readlane_b32 s3, v61, 35
	s_and_b64 s[2:3], s[0:1], s[2:3]
	s_mov_b64 exec, s[2:3]
	s_cbranch_execz .LBB0_277
; %bb.276:                              ;   in Loop: Header=BB0_225 Depth=1
	scratch_load_dwordx2 v[4:5], off, s33 offset:892 ; 8-byte Folded Reload
	s_waitcnt vmcnt(0)
	v_mul_f64 v[4:5], v[4:5], v[0:1]
	scratch_store_dwordx2 off, v[4:5], s33 offset:328
.LBB0_277:                              ;   in Loop: Header=BB0_225 Depth=1
	s_or_b64 exec, exec, s[0:1]
	s_mov_b64 s[0:1], exec
	scratch_load_dwordx2 v[40:41], off, s33 offset:868 ; 8-byte Folded Reload
	v_readlane_b32 s2, v61, 30
	v_readlane_b32 s3, v61, 31
	s_and_b64 s[2:3], s[0:1], s[2:3]
	s_mov_b64 exec, s[2:3]
	s_cbranch_execz .LBB0_280
; %bb.278:                              ;   in Loop: Header=BB0_225 Depth=1
	scratch_load_dwordx2 v[4:5], off, s33 offset:376
	s_add_i32 s2, s33, 0x140
	s_mov_b32 s4, s2
	s_mov_b32 s5, 1
	s_mov_b64 s[2:3], 0
.LBB0_279:                              ;   Parent Loop BB0_225 Depth=1
                                        ; =>  This Inner Loop Header: Depth=2
	scratch_load_dwordx2 v[8:9], off, s4
	v_cvt_f64_i32_e32 v[6:7], s5
	s_waitcnt vmcnt(2)
	v_mul_f64 v[6:7], v[40:41], v[6:7]
	s_add_i32 s5, s5, 1
	s_add_i32 s6, s4, 0x70
	;; [unrolled: 1-line block ×3, first 2 shown]
	v_cmp_eq_u32_e32 vcc, s5, v18
	s_or_b64 s[2:3], vcc, s[2:3]
	s_waitcnt vmcnt(0)
	v_mul_f64 v[6:7], v[8:9], v[6:7]
	v_fmac_f64_e32 v[6:7], v[2:3], v[4:5]
	v_mov_b64_e32 v[4:5], v[6:7]
	scratch_store_dwordx2 off, v[6:7], s6
	s_andn2_b64 exec, exec, s[2:3]
	s_cbranch_execnz .LBB0_279
.LBB0_280:                              ;   in Loop: Header=BB0_225 Depth=1
	s_or_b64 exec, exec, s[0:1]
	s_and_saveexec_b64 s[0:1], s[18:19]
	s_cbranch_execz .LBB0_283
; %bb.281:                              ;   in Loop: Header=BB0_225 Depth=1
	scratch_load_dwordx2 v[2:3], off, s33 offset:328
	s_add_i32 s2, s33, 0x140
	s_mov_b32 s4, s2
	s_mov_b32 s5, 1
	s_mov_b64 s[2:3], 0
.LBB0_282:                              ;   Parent Loop BB0_225 Depth=1
                                        ; =>  This Inner Loop Header: Depth=2
	scratch_load_dwordx2 v[6:7], off, s4
	v_cvt_f64_i32_e32 v[4:5], s5
	v_mul_f64 v[4:5], v[10:11], v[4:5]
	s_add_i32 s5, s5, 1
	s_add_i32 s6, s4, 16
	;; [unrolled: 1-line block ×3, first 2 shown]
	v_cmp_eq_u32_e32 vcc, s5, v19
	s_or_b64 s[2:3], vcc, s[2:3]
	s_waitcnt vmcnt(0)
	v_mul_f64 v[4:5], v[6:7], v[4:5]
	v_fmac_f64_e32 v[4:5], v[0:1], v[2:3]
	v_mov_b64_e32 v[2:3], v[4:5]
	scratch_store_dwordx2 off, v[4:5], s6
	s_andn2_b64 exec, exec, s[2:3]
	s_cbranch_execnz .LBB0_282
.LBB0_283:                              ;   in Loop: Header=BB0_225 Depth=1
	s_or_b64 exec, exec, s[0:1]
	s_mov_b64 s[0:1], exec
	v_readlane_b32 s2, v61, 36
	v_readlane_b32 s3, v61, 37
	s_and_b64 s[2:3], s[0:1], s[2:3]
	s_mov_b64 exec, s[2:3]
	s_cbranch_execz .LBB0_289
; %bb.284:                              ;   in Loop: Header=BB0_225 Depth=1
	s_mov_b32 s9, 1
	s_mov_b64 s[2:3], 0
	v_mov_b64_e32 v[2:3], 1.0
	v_readlane_b32 s8, v61, 44
	s_branch .LBB0_286
.LBB0_285:                              ;   in Loop: Header=BB0_286 Depth=2
	s_or_b64 exec, exec, s[4:5]
	s_add_i32 s4, s9, 1
	s_add_i32 s8, s8, 56
	v_cmp_eq_u32_e32 vcc, s9, v18
	v_add_f64 v[2:3], v[2:3], 1.0
	s_or_b64 s[2:3], vcc, s[2:3]
	s_mov_b32 s9, s4
	s_andn2_b64 exec, exec, s[2:3]
	s_cbranch_execz .LBB0_289
.LBB0_286:                              ;   Parent Loop BB0_225 Depth=1
                                        ; =>  This Loop Header: Depth=2
                                        ;       Child Loop BB0_288 Depth 3
	s_mul_i32 s4, s9, 56
	s_add_i32 s5, s33, s4
	s_add_i32 s4, s5, 0x140
	s_add_i32 s5, s4, 0xffffffc8
	scratch_load_dwordx2 v[6:7], off, s4
	scratch_load_dwordx2 v[8:9], off, s5
	scratch_load_dwordx2 v[4:5], off, s33 offset:744 ; 8-byte Folded Reload
	s_waitcnt vmcnt(2)
	v_mul_f64 v[6:7], v[0:1], v[6:7]
	s_waitcnt vmcnt(0)
	v_mul_f64 v[4:5], v[4:5], v[2:3]
	v_fmac_f64_e32 v[6:7], v[8:9], v[4:5]
	scratch_store_dwordx2 off, v[6:7], s4 offset:8
	s_and_saveexec_b64 s[4:5], s[18:19]
	s_cbranch_execz .LBB0_285
; %bb.287:                              ;   in Loop: Header=BB0_286 Depth=2
	s_mov_b32 s10, 1
	s_mov_b64 s[6:7], 0
	s_mov_b32 s11, s8
.LBB0_288:                              ;   Parent Loop BB0_225 Depth=1
                                        ;     Parent Loop BB0_286 Depth=2
                                        ; =>    This Inner Loop Header: Depth=3
	v_cvt_f64_i32_e32 v[8:9], s10
	s_add_i32 s12, s11, -16
	s_waitcnt vmcnt(1)
	v_mul_f64 v[8:9], v[10:11], v[8:9]
	scratch_load_dwordx2 v[10:11], off, s12
	s_add_i32 s12, s11, 0xffffffc0
	s_add_i32 s10, s10, 1
	v_cmp_eq_u32_e32 vcc, s10, v19
	s_waitcnt vmcnt(0)
	v_mul_f64 v[8:9], v[10:11], v[8:9]
	scratch_load_dwordx2 v[10:11], off, s12
	s_waitcnt vmcnt(0)
	v_fmac_f64_e32 v[8:9], v[4:5], v[10:11]
	scratch_load_dwordx2 v[10:11], off, s33 offset:712 ; 8-byte Folded Reload
	v_fmac_f64_e32 v[8:9], v[0:1], v[6:7]
	scratch_store_dwordx2 off, v[8:9], s11
	s_add_i32 s11, s11, 8
	s_or_b64 s[6:7], vcc, s[6:7]
	v_mov_b64_e32 v[6:7], v[8:9]
	s_andn2_b64 exec, exec, s[6:7]
	s_cbranch_execnz .LBB0_288
	s_branch .LBB0_285
.LBB0_289:                              ;   in Loop: Header=BB0_225 Depth=1
	s_or_b64 exec, exec, s[0:1]
	v_mov_b64_e32 v[0:1], 0
	s_mov_b64 s[2:3], exec
	scratch_load_dword v59, off, s33 offset:768 ; 4-byte Folded Reload
	v_readlane_b32 s0, v61, 38
	v_readlane_b32 s1, v61, 39
	s_and_b64 s[0:1], s[2:3], s[0:1]
	s_mov_b64 exec, s[0:1]
	s_cbranch_execz .LBB0_224
; %bb.290:                              ;   in Loop: Header=BB0_225 Depth=1
	scratch_load_dword v58, off, s33 offset:1064 ; 4-byte Folded Reload
	v_writelane_b32 v61, s2, 63
	v_mov_b64_e32 v[0:1], 0
	s_mov_b32 s86, 0
	v_writelane_b32 v62, s3, 0
	s_mov_b64 s[66:67], 0
	s_branch .LBB0_292
.LBB0_291:                              ;   in Loop: Header=BB0_292 Depth=2
	s_or_b64 exec, exec, s[2:3]
	scratch_load_dword v44, off, s33 offset:788 ; 4-byte Folded Reload
	s_getpc_b64 s[0:1]
	s_add_u32 s0, s0, _Z13cuda_binomialii@rel32@lo+4
	s_addc_u32 s1, s1, _Z13cuda_binomialii@rel32@hi+12
	s_mov_b64 s[4:5], s[92:93]
	s_mov_b64 s[6:7], s[90:91]
	;; [unrolled: 1-line block ×4, first 2 shown]
	s_mov_b32 s12, s69
	s_mov_b32 s13, s99
	;; [unrolled: 1-line block ×4, first 2 shown]
	s_waitcnt vmcnt(3)
	v_mov_b32_e32 v31, v59
	v_mov_b32_e32 v1, s86
	s_waitcnt vmcnt(0)
	v_mov_b32_e32 v0, v44
	s_swappc_b64 s[30:31], s[0:1]
	v_subrev_u32_e32 v1, s86, v44
	v_readlane_b32 s0, v61, 42
	v_cvt_f64_i32_e32 v[2:3], v1
	v_readlane_b32 s1, v61, 43
	scratch_load_dwordx2 v[24:25], off, s33 offset:720 ; 8-byte Folded Reload
	s_mov_b32 s50, s34
	v_cndmask_b32_e64 v5, v3, v60, s[0:1]
	v_cndmask_b32_e64 v4, v2, 0, s[0:1]
	scratch_load_dwordx2 v[2:3], off, s33 offset:808 ; 8-byte Folded Reload
	v_cmp_neq_f64_e32 vcc, 0, v[4:5]
	s_mov_b32 s0, 0x4222de17
	s_mov_b32 s1, 0x3fbdee67
	;; [unrolled: 1-line block ×4, first 2 shown]
	v_mov_b32_e32 v48, 0x7ff00000
	v_mov_b32_e32 v49, 0x7ff80000
	v_cmp_gt_f64_e64 s[2:3], 0, v[4:5]
	v_accvgpr_read_b32 v26, a44
	v_accvgpr_read_b32 v28, a54
	;; [unrolled: 1-line block ×10, first 2 shown]
	s_mov_b64 s[92:93], s[70:71]
	s_mov_b64 s[90:91], s[48:49]
	s_mov_b64 s[88:89], s[38:39]
	s_mov_b64 s[78:79], s[36:37]
	v_accvgpr_read_b32 v27, a45
	v_accvgpr_read_b32 v29, a55
	;; [unrolled: 1-line block ×10, first 2 shown]
	v_add_u32_e32 v58, 8, v58
	s_waitcnt vmcnt(0)
	v_cndmask_b32_e32 v3, v60, v3, vcc
	v_cndmask_b32_e32 v2, 0, v2, vcc
	v_frexp_mant_f64_e64 v[6:7], |v[2:3]|
	v_cmp_gt_f64_e32 vcc, s[34:35], v[6:7]
	v_cmp_class_f64_e64 s[4:5], v[2:3], s80
	s_nop 0
	v_cndmask_b32_e64 v1, 0, 1, vcc
	v_ldexp_f64 v[6:7], v[6:7], v1
	v_add_f64 v[8:9], v[6:7], 1.0
	v_rcp_f64_e32 v[10:11], v[8:9]
	v_add_f64 v[14:15], v[8:9], -1.0
	v_add_f64 v[12:13], v[6:7], -1.0
	v_add_f64 v[6:7], v[6:7], -v[14:15]
	v_fma_f64 v[14:15], -v[8:9], v[10:11], 1.0
	v_fmac_f64_e32 v[10:11], v[14:15], v[10:11]
	v_fma_f64 v[14:15], -v[8:9], v[10:11], 1.0
	v_fmac_f64_e32 v[10:11], v[14:15], v[10:11]
	v_mul_f64 v[14:15], v[12:13], v[10:11]
	v_mul_f64 v[16:17], v[8:9], v[14:15]
	v_fma_f64 v[8:9], v[14:15], v[8:9], -v[16:17]
	v_fmac_f64_e32 v[8:9], v[14:15], v[6:7]
	v_add_f64 v[6:7], v[16:17], v[8:9]
	v_add_f64 v[18:19], v[12:13], -v[6:7]
	v_add_f64 v[16:17], v[6:7], -v[16:17]
	;; [unrolled: 1-line block ×5, first 2 shown]
	v_add_f64 v[6:7], v[8:9], v[6:7]
	v_add_f64 v[6:7], v[18:19], v[6:7]
	v_mul_f64 v[6:7], v[10:11], v[6:7]
	v_add_f64 v[8:9], v[14:15], v[6:7]
	v_add_f64 v[10:11], v[8:9], -v[14:15]
	v_add_f64 v[6:7], v[6:7], -v[10:11]
	v_mul_f64 v[10:11], v[8:9], v[8:9]
	v_fma_f64 v[14:15], v[8:9], v[8:9], -v[10:11]
	v_add_f64 v[12:13], v[6:7], v[6:7]
	v_fmac_f64_e32 v[14:15], v[8:9], v[12:13]
	v_add_f64 v[12:13], v[10:11], v[14:15]
	v_add_f64 v[10:11], v[12:13], -v[10:11]
	v_add_f64 v[10:11], v[14:15], -v[10:11]
	v_mov_b64_e32 v[14:15], v[24:25]
	v_accvgpr_read_b32 v16, a44
	v_fmac_f64_e32 v[14:15], s[0:1], v[12:13]
	v_accvgpr_read_b32 v17, a45
	v_fmac_f64_e32 v[16:17], v[12:13], v[14:15]
	v_accvgpr_read_b32 v14, a54
	v_accvgpr_read_b32 v15, a55
	v_fmac_f64_e32 v[14:15], v[12:13], v[16:17]
	v_accvgpr_read_b32 v16, a40
	;; [unrolled: 3-line block ×6, first 2 shown]
	v_accvgpr_read_b32 v17, a39
	v_fmac_f64_e32 v[16:17], v[12:13], v[14:15]
	v_mul_f64 v[14:15], v[8:9], v[12:13]
	v_fma_f64 v[18:19], v[12:13], v[8:9], -v[14:15]
	v_mul_f64 v[20:21], v[12:13], v[16:17]
	v_fmac_f64_e32 v[18:19], v[12:13], v[6:7]
	v_fma_f64 v[12:13], v[12:13], v[16:17], -v[20:21]
	v_fmac_f64_e32 v[12:13], v[10:11], v[16:17]
	v_fmac_f64_e32 v[18:19], v[10:11], v[8:9]
	v_add_f64 v[10:11], v[20:21], v[12:13]
	v_add_f64 v[16:17], v[10:11], -v[20:21]
	v_add_f64 v[12:13], v[12:13], -v[16:17]
	v_add_f64 v[16:17], v[10:11], s[34:35]
	s_mov_b32 s0, 0xd5df274d
	v_add_f64 v[20:21], v[16:17], s[50:51]
	s_mov_b32 s1, 0x3c8543b0
	v_add_f64 v[10:11], v[10:11], -v[20:21]
	v_add_f64 v[12:13], v[12:13], s[0:1]
	v_add_f64 v[10:11], v[12:13], v[10:11]
	;; [unrolled: 1-line block ×3, first 2 shown]
	v_add_f64 v[16:17], v[16:17], -v[12:13]
	v_add_f64 v[10:11], v[10:11], v[16:17]
	v_add_f64 v[16:17], v[14:15], v[18:19]
	v_mul_f64 v[20:21], v[16:17], v[12:13]
	v_fma_f64 v[22:23], v[16:17], v[12:13], -v[20:21]
	v_fmac_f64_e32 v[22:23], v[16:17], v[10:11]
	v_add_f64 v[10:11], v[16:17], -v[14:15]
	v_frexp_exp_i32_f64_e32 v1, v[2:3]
	v_add_f64 v[10:11], v[18:19], -v[10:11]
	v_subbrev_co_u32_e32 v1, vcc, 0, v1, vcc
	v_fmac_f64_e32 v[22:23], v[10:11], v[12:13]
	v_cvt_f64_i32_e32 v[10:11], v1
	v_mul_f64 v[12:13], v[10:11], s[64:65]
	v_fma_f64 v[14:15], v[10:11], s[64:65], -v[12:13]
	v_fmac_f64_e32 v[14:15], s[52:53], v[10:11]
	v_add_f64 v[10:11], v[12:13], v[14:15]
	v_add_f64 v[12:13], v[10:11], -v[12:13]
	v_add_f64 v[12:13], v[14:15], -v[12:13]
	v_add_f64 v[14:15], v[20:21], v[22:23]
	v_ldexp_f64 v[8:9], v[8:9], 1
	v_add_f64 v[16:17], v[14:15], -v[20:21]
	v_add_f64 v[18:19], v[8:9], v[14:15]
	v_add_f64 v[16:17], v[22:23], -v[16:17]
	v_add_f64 v[8:9], v[18:19], -v[8:9]
	v_ldexp_f64 v[6:7], v[6:7], 1
	v_add_f64 v[8:9], v[14:15], -v[8:9]
	v_add_f64 v[6:7], v[6:7], v[16:17]
	v_add_f64 v[6:7], v[6:7], v[8:9]
	;; [unrolled: 1-line block ×3, first 2 shown]
	v_add_f64 v[14:15], v[8:9], -v[18:19]
	v_add_f64 v[6:7], v[6:7], -v[14:15]
	v_add_f64 v[14:15], v[10:11], v[8:9]
	v_add_f64 v[16:17], v[14:15], -v[10:11]
	v_add_f64 v[18:19], v[14:15], -v[16:17]
	;; [unrolled: 1-line block ×4, first 2 shown]
	v_add_f64 v[8:9], v[8:9], v[10:11]
	v_add_f64 v[10:11], v[12:13], v[6:7]
	v_add_f64 v[16:17], v[10:11], -v[12:13]
	v_add_f64 v[18:19], v[10:11], -v[16:17]
	v_add_f64 v[8:9], v[10:11], v[8:9]
	v_add_f64 v[12:13], v[12:13], -v[18:19]
	v_add_f64 v[6:7], v[6:7], -v[16:17]
	v_add_f64 v[10:11], v[14:15], v[8:9]
	v_add_f64 v[6:7], v[6:7], v[12:13]
	v_add_f64 v[12:13], v[10:11], -v[14:15]
	v_add_f64 v[8:9], v[8:9], -v[12:13]
	v_add_f64 v[6:7], v[6:7], v[8:9]
	v_add_f64 v[8:9], v[10:11], v[6:7]
	v_add_f64 v[10:11], v[8:9], -v[10:11]
	v_add_f64 v[6:7], v[6:7], -v[10:11]
	v_mul_f64 v[10:11], v[4:5], v[8:9]
	v_fma_f64 v[8:9], v[4:5], v[8:9], -v[10:11]
	v_fmac_f64_e32 v[8:9], v[4:5], v[6:7]
	v_add_f64 v[6:7], v[10:11], v[8:9]
	v_cmp_class_f64_e64 vcc, v[10:11], s80
	s_mov_b32 s0, 0
	v_add_f64 v[12:13], v[6:7], -v[10:11]
	v_cndmask_b32_e32 v7, v7, v11, vcc
	v_cndmask_b32_e32 v6, v6, v10, vcc
	s_mov_b32 s1, 0x7ff00000
	v_cmp_neq_f64_e64 vcc, |v[6:7]|, s[0:1]
	s_mov_b32 s0, 0x652b82fe
	s_mov_b32 s1, 0x3ff71547
	v_mul_f64 v[10:11], v[6:7], s[0:1]
	v_rndne_f64_e32 v[10:11], v[10:11]
	v_add_f64 v[8:9], v[8:9], -v[12:13]
	v_fma_f64 v[12:13], s[82:83], v[10:11], v[6:7]
	v_accvgpr_read_b32 v14, a36
	s_mov_b32 s0, 0x6a5dcb37
	v_fmac_f64_e32 v[12:13], s[96:97], v[10:11]
	v_accvgpr_read_b32 v15, a37
	s_mov_b32 s1, 0x3e5ade15
	v_accvgpr_read_b32 v16, a48
	v_fmac_f64_e32 v[14:15], s[0:1], v[12:13]
	v_accvgpr_read_b32 v17, a49
	v_fmac_f64_e32 v[16:17], v[12:13], v[14:15]
	v_accvgpr_read_b32 v14, a60
	v_accvgpr_read_b32 v15, a61
	v_fmac_f64_e32 v[14:15], v[12:13], v[16:17]
	v_accvgpr_read_b32 v16, a46
	v_accvgpr_read_b32 v17, a47
	v_fmac_f64_e32 v[16:17], v[12:13], v[14:15]
	v_accvgpr_read_b32 v14, a42
	v_accvgpr_read_b32 v15, a43
	v_fmac_f64_e32 v[14:15], v[12:13], v[16:17]
	scratch_load_dwordx2 v[16:17], off, s33 offset:728 ; 8-byte Folded Reload
	s_mov_b32 s0, 0
	s_mov_b32 s1, 0x40900000
	v_cndmask_b32_e32 v9, 0, v9, vcc
	v_cndmask_b32_e32 v8, 0, v8, vcc
	v_cmp_nlt_f64_e32 vcc, s[0:1], v[6:7]
	s_mov_b32 s0, 0
	v_cvt_i32_f64_e32 v10, v[10:11]
	s_mov_b32 s1, 0xc090cc00
	v_cmp_ngt_f64_e64 s[0:1], s[0:1], v[6:7]
	v_cvt_f64_i32_e32 v[0:1], v0
	v_accvgpr_read_b32 v20, a36
	v_accvgpr_read_b32 v22, a48
	;; [unrolled: 1-line block ×4, first 2 shown]
	s_waitcnt vmcnt(0)
	v_fmac_f64_e32 v[16:17], v[12:13], v[14:15]
	scratch_load_dwordx2 v[14:15], off, s33 offset:752 ; 8-byte Folded Reload
	s_waitcnt vmcnt(0)
	v_fmac_f64_e32 v[14:15], v[12:13], v[16:17]
	scratch_load_dwordx2 v[16:17], off, s33 offset:760 ; 8-byte Folded Reload
	;; [unrolled: 3-line block ×3, first 2 shown]
	s_waitcnt vmcnt(0)
	v_fmac_f64_e32 v[14:15], v[12:13], v[16:17]
	v_fma_f64 v[14:15], v[12:13], v[14:15], 1.0
	v_fma_f64 v[12:13], v[12:13], v[14:15], 1.0
	v_ldexp_f64 v[10:11], v[12:13], v10
	v_cndmask_b32_e32 v11, v48, v11, vcc
	s_and_b64 vcc, s[0:1], vcc
	v_cndmask_b32_e64 v7, 0, v11, s[0:1]
	v_cndmask_b32_e32 v6, 0, v10, vcc
	v_mov_b64_e32 v[10:11], v[6:7]
	v_fmac_f64_e32 v[10:11], v[10:11], v[8:9]
	v_cmp_class_f64_e64 vcc, v[6:7], s80
	v_trunc_f64_e32 v[8:9], v[4:5]
	s_nop 0
	v_cndmask_b32_e32 v6, v10, v6, vcc
	v_cndmask_b32_e32 v7, v11, v7, vcc
	v_cmp_eq_f64_e32 vcc, v[8:9], v[4:5]
	v_mul_f64 v[8:9], v[4:5], 0.5
	v_trunc_f64_e32 v[10:11], v[8:9]
	v_cmp_neq_f64_e64 s[0:1], v[10:11], v[8:9]
	s_and_b64 s[0:1], vcc, s[0:1]
	v_cndmask_b32_e32 v9, 0, v6, vcc
	v_cndmask_b32_e64 v8, v60, v3, s[0:1]
	v_bfi_b32 v7, s81, v7, v8
	v_cndmask_b32_e32 v8, v49, v7, vcc
	v_cmp_gt_f64_e32 vcc, 0, v[2:3]
	v_cndmask_b32_e64 v5, 0, v3, s[0:1]
	s_add_i32 s0, s86, 1
	v_cndmask_b32_e32 v6, v6, v9, vcc
	v_cndmask_b32_e32 v7, v7, v8, vcc
	v_cmp_eq_f64_e32 vcc, 0, v[2:3]
	s_xor_b64 s[2:3], s[2:3], vcc
	v_cndmask_b32_e64 v4, v48, 0, s[2:3]
	v_bfi_b32 v4, s81, v4, v5
	s_or_b64 vcc, vcc, s[4:5]
	v_cndmask_b32_e32 v4, v7, v4, vcc
	v_cndmask_b32_e64 v5, v6, 0, vcc
	v_cmp_o_f64_e32 vcc, v[2:3], v[2:3]
	s_nop 1
	v_cndmask_b32_e32 v2, 0, v5, vcc
	v_cndmask_b32_e32 v3, v49, v4, vcc
	v_mul_f64 v[0:1], v[2:3], v[0:1]
	scratch_load_dwordx2 v[2:3], off, s33 offset:712 ; 8-byte Folded Reload
	v_cmp_eq_u32_e32 vcc, s86, v44
	s_or_b64 s[66:67], vcc, s[66:67]
	s_mov_b32 s86, s0
	s_waitcnt vmcnt(0)
	v_fmac_f64_e32 v[2:3], v[42:43], v[0:1]
	v_mov_b64_e32 v[0:1], v[2:3]
	s_andn2_b64 exec, exec, s[66:67]
	s_cbranch_execz .LBB0_223
.LBB0_292:                              ;   Parent Loop BB0_225 Depth=1
                                        ; =>  This Loop Header: Depth=2
                                        ;       Child Loop BB0_294 Depth 3
	v_mov_b64_e32 v[42:43], 0
	scratch_store_dwordx2 off, v[0:1], s33 offset:712 ; 8-byte Folded Spill
	s_mov_b64 s[2:3], exec
	v_readlane_b32 s0, v61, 40
	v_readlane_b32 s1, v61, 41
	s_and_b64 s[0:1], s[2:3], s[0:1]
	s_mov_b64 exec, s[0:1]
	s_cbranch_execz .LBB0_291
; %bb.293:                              ;   in Loop: Header=BB0_292 Depth=2
	scratch_load_dword a32, off, s33 offset:856 ; 4-byte Folded Reload
	scratch_load_dwordx2 v[56:57], off, s33 offset:824 ; 8-byte Folded Reload
	scratch_load_dwordx2 a[62:63], off, s33 offset:728 ; 8-byte Folded Reload
	;; [unrolled: 1-line block ×5, first 2 shown]
	v_writelane_b32 v61, s2, 61
	v_mov_b64_e32 v[42:43], 0
	s_mov_b32 s87, 0
	v_writelane_b32 v61, s3, 62
	s_mov_b64 s[54:55], 0
	s_waitcnt vmcnt(7)
	v_mov_b32_e32 v45, v58
	s_waitcnt vmcnt(5)
	v_accvgpr_read_b32 v44, a32
.LBB0_294:                              ;   Parent Loop BB0_225 Depth=1
                                        ;     Parent Loop BB0_292 Depth=2
                                        ; =>    This Inner Loop Header: Depth=3
	s_getpc_b64 s[0:1]
	s_add_u32 s0, s0, _Z13cuda_binomialii@rel32@lo+4
	s_addc_u32 s1, s1, _Z13cuda_binomialii@rel32@hi+12
	s_mov_b64 s[4:5], s[92:93]
	s_mov_b64 s[6:7], s[90:91]
	;; [unrolled: 1-line block ×4, first 2 shown]
	s_mov_b32 s12, s69
	s_mov_b32 s13, s99
	;; [unrolled: 1-line block ×4, first 2 shown]
	v_mov_b32_e32 v31, v59
	v_accvgpr_read_b32 v0, a32
	v_mov_b32_e32 v1, s87
	v_mov_b32_e32 v40, v48
	v_mov_b32_e32 v41, v49
	s_swappc_b64 s[30:31], s[0:1]
	scratch_load_dwordx2 v[18:19], off, s33 offset:720 ; 8-byte Folded Reload
	v_cvt_f64_i32_e32 v[2:3], v44
	v_cndmask_b32_e64 v5, v3, v60, s[84:85]
	v_cndmask_b32_e64 v4, v2, 0, s[84:85]
	v_cmp_neq_f64_e32 vcc, 0, v[4:5]
	v_trunc_f64_e32 v[6:7], v[4:5]
	v_mul_f64 v[8:9], v[4:5], 0.5
	v_cndmask_b32_e32 v3, v60, v57, vcc
	v_cndmask_b32_e32 v2, 0, v56, vcc
	v_frexp_mant_f64_e64 v[10:11], |v[2:3]|
	v_cmp_gt_f64_e64 s[0:1], s[34:35], v[10:11]
	v_cmp_eq_f64_e32 vcc, v[6:7], v[4:5]
	v_trunc_f64_e32 v[6:7], v[8:9]
	v_cndmask_b32_e64 v1, 0, 1, s[0:1]
	v_cmp_neq_f64_e64 s[2:3], v[6:7], v[8:9]
	v_ldexp_f64 v[6:7], v[10:11], v1
	v_add_f64 v[10:11], v[6:7], 1.0
	v_rcp_f64_e32 v[12:13], v[10:11]
	v_add_f64 v[14:15], v[10:11], -1.0
	v_add_f64 v[8:9], v[6:7], -1.0
	v_add_f64 v[6:7], v[6:7], -v[14:15]
	v_fma_f64 v[14:15], -v[10:11], v[12:13], 1.0
	v_fmac_f64_e32 v[12:13], v[14:15], v[12:13]
	v_fma_f64 v[14:15], -v[10:11], v[12:13], 1.0
	v_fmac_f64_e32 v[12:13], v[14:15], v[12:13]
	v_mul_f64 v[14:15], v[8:9], v[12:13]
	v_mul_f64 v[16:17], v[10:11], v[14:15]
	v_fma_f64 v[10:11], v[14:15], v[10:11], -v[16:17]
	v_fmac_f64_e32 v[10:11], v[14:15], v[6:7]
	v_add_f64 v[6:7], v[16:17], v[10:11]
	v_add_f64 v[16:17], v[6:7], -v[16:17]
	v_add_f64 v[10:11], v[16:17], -v[10:11]
	v_add_f64 v[16:17], v[8:9], -v[6:7]
	v_add_f64 v[8:9], v[8:9], -v[16:17]
	v_add_f64 v[6:7], v[8:9], -v[6:7]
	v_add_f64 v[6:7], v[10:11], v[6:7]
	v_add_f64 v[6:7], v[16:17], v[6:7]
	v_mul_f64 v[6:7], v[12:13], v[6:7]
	v_add_f64 v[8:9], v[14:15], v[6:7]
	v_add_f64 v[10:11], v[8:9], -v[14:15]
	v_mul_f64 v[12:13], v[8:9], v[8:9]
	v_add_f64 v[6:7], v[6:7], -v[10:11]
	v_fma_f64 v[10:11], v[8:9], v[8:9], -v[12:13]
	v_add_f64 v[14:15], v[6:7], v[6:7]
	v_fmac_f64_e32 v[10:11], v[8:9], v[14:15]
	v_add_f64 v[14:15], v[12:13], v[10:11]
	s_mov_b32 s4, 0x4222de17
	v_add_f64 v[12:13], v[14:15], -v[12:13]
	s_mov_b32 s5, 0x3fbdee67
	v_add_f64 v[10:11], v[10:11], -v[12:13]
	v_accvgpr_read_b32 v12, a44
	v_accvgpr_read_b32 v13, a45
	;; [unrolled: 1-line block ×4, first 2 shown]
	s_mov_b32 s14, 0xd5df274d
	s_mov_b32 s50, s34
	;; [unrolled: 1-line block ×3, first 2 shown]
	v_frexp_exp_i32_f64_e32 v1, v[2:3]
	v_subbrev_co_u32_e64 v1, s[0:1], 0, v1, s[0:1]
	s_and_b64 s[2:3], vcc, s[2:3]
	s_mov_b32 s6, 0x652b82fe
	s_mov_b32 s7, 0x3ff71547
	;; [unrolled: 1-line block ×10, first 2 shown]
	v_cmp_eq_f64_e64 s[0:1], 0, v[2:3]
	v_mov_b32_e32 v48, v40
	s_mov_b32 s13, 0xc090cc00
	s_mov_b32 s11, 0x40900000
	v_mov_b32_e32 v49, v41
	v_add_u32_e32 v44, -1, v44
	s_add_i32 s87, s87, 1
	s_mov_b64 s[92:93], s[70:71]
	s_mov_b64 s[90:91], s[48:49]
	s_waitcnt vmcnt(0)
	v_fmac_f64_e32 v[18:19], s[4:5], v[14:15]
	v_fmac_f64_e32 v[12:13], v[14:15], v[18:19]
	;; [unrolled: 1-line block ×3, first 2 shown]
	v_accvgpr_read_b32 v12, a40
	v_accvgpr_read_b32 v13, a41
	v_fmac_f64_e32 v[12:13], v[14:15], v[16:17]
	v_accvgpr_read_b32 v16, a34
	v_accvgpr_read_b32 v17, a35
	v_fmac_f64_e32 v[16:17], v[14:15], v[12:13]
	;; [unrolled: 3-line block ×5, first 2 shown]
	v_mul_f64 v[16:17], v[8:9], v[14:15]
	v_fma_f64 v[18:19], v[14:15], v[8:9], -v[16:17]
	v_mul_f64 v[20:21], v[14:15], v[12:13]
	v_fmac_f64_e32 v[18:19], v[14:15], v[6:7]
	v_fma_f64 v[14:15], v[14:15], v[12:13], -v[20:21]
	v_fmac_f64_e32 v[14:15], v[10:11], v[12:13]
	v_fmac_f64_e32 v[18:19], v[10:11], v[8:9]
	v_add_f64 v[10:11], v[20:21], v[14:15]
	v_add_f64 v[12:13], v[10:11], -v[20:21]
	v_add_f64 v[12:13], v[14:15], -v[12:13]
	v_add_f64 v[14:15], v[10:11], s[34:35]
	v_add_f64 v[20:21], v[14:15], s[50:51]
	v_add_f64 v[10:11], v[10:11], -v[20:21]
	v_add_f64 v[12:13], v[12:13], s[14:15]
	v_add_f64 v[10:11], v[12:13], v[10:11]
	;; [unrolled: 1-line block ×3, first 2 shown]
	v_add_f64 v[14:15], v[14:15], -v[12:13]
	v_add_f64 v[10:11], v[10:11], v[14:15]
	v_add_f64 v[14:15], v[16:17], v[18:19]
	v_mul_f64 v[20:21], v[14:15], v[12:13]
	v_fma_f64 v[22:23], v[14:15], v[12:13], -v[20:21]
	v_fmac_f64_e32 v[22:23], v[14:15], v[10:11]
	v_add_f64 v[10:11], v[14:15], -v[16:17]
	v_add_f64 v[10:11], v[18:19], -v[10:11]
	v_fmac_f64_e32 v[22:23], v[10:11], v[12:13]
	v_cvt_f64_i32_e32 v[10:11], v1
	v_mul_f64 v[12:13], v[10:11], s[64:65]
	v_fma_f64 v[14:15], v[10:11], s[64:65], -v[12:13]
	v_fmac_f64_e32 v[14:15], s[52:53], v[10:11]
	v_add_f64 v[10:11], v[12:13], v[14:15]
	v_add_f64 v[12:13], v[10:11], -v[12:13]
	v_add_f64 v[12:13], v[14:15], -v[12:13]
	v_add_f64 v[14:15], v[20:21], v[22:23]
	v_ldexp_f64 v[8:9], v[8:9], 1
	v_add_f64 v[16:17], v[14:15], -v[20:21]
	v_add_f64 v[18:19], v[8:9], v[14:15]
	v_add_f64 v[16:17], v[22:23], -v[16:17]
	v_add_f64 v[8:9], v[18:19], -v[8:9]
	v_ldexp_f64 v[6:7], v[6:7], 1
	v_add_f64 v[8:9], v[14:15], -v[8:9]
	v_add_f64 v[6:7], v[6:7], v[16:17]
	v_add_f64 v[6:7], v[6:7], v[8:9]
	v_add_f64 v[8:9], v[18:19], v[6:7]
	v_add_f64 v[14:15], v[8:9], -v[18:19]
	v_add_f64 v[16:17], v[10:11], v[8:9]
	v_add_f64 v[6:7], v[6:7], -v[14:15]
	v_add_f64 v[14:15], v[16:17], -v[10:11]
	;; [unrolled: 1-line block ×5, first 2 shown]
	v_add_f64 v[14:15], v[12:13], v[6:7]
	v_add_f64 v[8:9], v[8:9], v[10:11]
	v_add_f64 v[10:11], v[14:15], -v[12:13]
	v_add_f64 v[6:7], v[6:7], -v[10:11]
	;; [unrolled: 1-line block ×4, first 2 shown]
	v_add_f64 v[8:9], v[14:15], v[8:9]
	v_add_f64 v[6:7], v[6:7], v[10:11]
	;; [unrolled: 1-line block ×3, first 2 shown]
	v_add_f64 v[16:17], v[10:11], -v[16:17]
	v_add_f64 v[8:9], v[8:9], -v[16:17]
	v_add_f64 v[6:7], v[6:7], v[8:9]
	v_add_f64 v[8:9], v[10:11], v[6:7]
	v_add_f64 v[10:11], v[8:9], -v[10:11]
	v_add_f64 v[6:7], v[6:7], -v[10:11]
	v_mul_f64 v[10:11], v[4:5], v[8:9]
	v_fma_f64 v[18:19], v[4:5], v[8:9], -v[10:11]
	v_fmac_f64_e32 v[18:19], v[4:5], v[6:7]
	v_cmp_gt_f64_e64 s[4:5], 0, v[4:5]
	v_cndmask_b32_e64 v13, v60, v3, s[2:3]
	v_cndmask_b32_e64 v12, 0, v3, s[2:3]
	v_add_f64 v[4:5], v[10:11], v[18:19]
	v_cmp_class_f64_e64 s[2:3], v[10:11], s80
	v_accvgpr_read_b32 v14, a36
	v_accvgpr_read_b32 v15, a37
	v_cndmask_b32_e64 v9, v5, v11, s[2:3]
	v_cndmask_b32_e64 v8, v4, v10, s[2:3]
	v_add_f64 v[4:5], v[4:5], -v[10:11]
	v_mul_f64 v[10:11], v[8:9], s[6:7]
	v_rndne_f64_e32 v[10:11], v[10:11]
	v_add_f64 v[4:5], v[18:19], -v[4:5]
	v_fma_f64 v[18:19], s[82:83], v[10:11], v[8:9]
	v_accvgpr_read_b32 v16, a48
	v_cmp_neq_f64_e64 s[2:3], |v[8:9]|, s[16:17]
	v_fmac_f64_e32 v[18:19], s[96:97], v[10:11]
	v_accvgpr_read_b32 v17, a49
	v_cndmask_b32_e64 v7, 0, v5, s[2:3]
	v_cndmask_b32_e64 v6, 0, v4, s[2:3]
	v_fmac_f64_e32 v[14:15], s[8:9], v[18:19]
	v_accvgpr_read_b32 v4, a60
	v_fmac_f64_e32 v[16:17], v[18:19], v[14:15]
	v_accvgpr_read_b32 v5, a61
	v_accvgpr_read_b32 v14, a46
	v_fmac_f64_e32 v[4:5], v[18:19], v[16:17]
	v_accvgpr_read_b32 v15, a47
	v_fmac_f64_e32 v[14:15], v[18:19], v[4:5]
	v_accvgpr_read_b32 v4, a42
	v_accvgpr_read_b32 v5, a43
	v_fmac_f64_e32 v[4:5], v[18:19], v[14:15]
	v_accvgpr_read_b32 v14, a62
	;; [unrolled: 3-line block ×3, first 2 shown]
	v_accvgpr_read_b32 v5, a51
	v_fmac_f64_e32 v[4:5], v[18:19], v[14:15]
	v_mov_b64_e32 v[14:15], v[46:47]
	v_fmac_f64_e32 v[14:15], v[18:19], v[4:5]
	scratch_load_dwordx2 v[4:5], v45, off
	v_accvgpr_read_b32 v16, a58
	v_accvgpr_read_b32 v17, a59
	v_fmac_f64_e32 v[16:17], v[18:19], v[14:15]
	v_cvt_i32_f64_e32 v14, v[10:11]
	v_fma_f64 v[10:11], v[18:19], v[16:17], 1.0
	s_xor_b64 s[4:5], s[4:5], s[0:1]
	v_fma_f64 v[10:11], v[18:19], v[10:11], 1.0
	v_cndmask_b32_e64 v1, v48, 0, s[4:5]
	v_ldexp_f64 v[10:11], v[10:11], v14
	v_cmp_nlt_f64_e64 s[4:5], s[10:11], v[8:9]
	v_cmp_ngt_f64_e64 s[6:7], s[12:13], v[8:9]
	v_cmp_class_f64_e64 s[8:9], v[2:3], s80
	v_cndmask_b32_e64 v11, v48, v11, s[4:5]
	s_and_b64 s[4:5], s[6:7], s[4:5]
	v_cndmask_b32_e64 v9, 0, v11, s[6:7]
	v_cndmask_b32_e64 v8, 0, v10, s[4:5]
	v_mov_b64_e32 v[10:11], v[8:9]
	v_fmac_f64_e32 v[10:11], v[10:11], v[6:7]
	v_cmp_class_f64_e64 s[4:5], v[8:9], s80
	v_bfi_b32 v12, s81, v1, v12
	v_cvt_f64_i32_e32 v[0:1], v0
	v_cndmask_b32_e64 v7, v11, v9, s[4:5]
	v_cndmask_b32_e64 v6, v10, v8, s[4:5]
	v_bfi_b32 v7, s81, v7, v13
	v_cndmask_b32_e32 v8, v49, v7, vcc
	v_cndmask_b32_e32 v9, 0, v6, vcc
	v_cmp_gt_f64_e32 vcc, 0, v[2:3]
	v_cmp_eq_u32_e64 s[2:3], -1, v44
	s_mov_b64 s[88:89], s[38:39]
	v_cndmask_b32_e32 v6, v6, v9, vcc
	v_cndmask_b32_e32 v7, v7, v8, vcc
	s_or_b64 vcc, s[0:1], s[8:9]
	v_cndmask_b32_e32 v7, v7, v12, vcc
	v_cndmask_b32_e64 v6, v6, 0, vcc
	v_cmp_o_f64_e32 vcc, v[2:3], v[2:3]
	s_mov_b64 s[78:79], s[36:37]
	v_add_u32_e32 v45, 56, v45
	v_cndmask_b32_e32 v2, 0, v6, vcc
	v_cndmask_b32_e32 v3, v49, v7, vcc
	v_mul_f64 v[0:1], v[2:3], v[0:1]
	s_or_b64 s[54:55], s[2:3], s[54:55]
	s_waitcnt vmcnt(0)
	v_fmac_f64_e32 v[42:43], v[4:5], v[0:1]
	s_andn2_b64 exec, exec, s[54:55]
	s_cbranch_execnz .LBB0_294
; %bb.295:                              ;   in Loop: Header=BB0_292 Depth=2
	s_or_b64 exec, exec, s[54:55]
	v_readlane_b32 s2, v61, 61
	v_readlane_b32 s3, v61, 62
	s_branch .LBB0_291
.LBB0_296:
	s_or_b64 exec, exec, s[8:9]
	v_readlane_b32 s2, v61, 0
	v_readlane_b32 s3, v61, 1
.LBB0_297:
	s_or_b64 exec, exec, s[2:3]
	scratch_load_dwordx2 v[2:3], off, s33 offset:1132 ; 8-byte Folded Reload
	s_mov_b32 s0, 0
	s_brev_b32 s1, 8
	v_mov_b32_e32 v0, 0x100
	v_readlane_b32 s30, v63, 34
	v_readlane_b32 s31, v63, 35
	;; [unrolled: 1-line block ×36, first 2 shown]
	s_mov_b32 s32, s33
	s_waitcnt vmcnt(0)
	v_cmp_gt_f64_e32 vcc, s[0:1], v[2:3]
	s_nop 1
	v_cndmask_b32_e32 v0, 0, v0, vcc
	v_ldexp_f64 v[0:1], v[2:3], v0
	v_rsq_f64_e32 v[2:3], v[0:1]
	s_mov_b32 s0, 0x50429b6d
	s_mov_b32 s1, 0x3ff20dd7
	v_mul_f64 v[4:5], v[0:1], v[2:3]
	v_mul_f64 v[2:3], v[2:3], 0.5
	v_fma_f64 v[6:7], -v[2:3], v[4:5], 0.5
	v_fmac_f64_e32 v[4:5], v[4:5], v[6:7]
	v_fma_f64 v[8:9], -v[4:5], v[4:5], v[0:1]
	v_fmac_f64_e32 v[2:3], v[2:3], v[6:7]
	v_fmac_f64_e32 v[4:5], v[8:9], v[2:3]
	v_fma_f64 v[6:7], -v[4:5], v[4:5], v[0:1]
	v_fmac_f64_e32 v[4:5], v[6:7], v[2:3]
	v_mov_b32_e32 v2, 0xffffff80
	v_cndmask_b32_e32 v2, 0, v2, vcc
	v_ldexp_f64 v[2:3], v[4:5], v2
	v_mov_b32_e32 v4, 0x260
	v_cmp_class_f64_e32 vcc, v[0:1], v4
	s_nop 1
	v_cndmask_b32_e32 v1, v3, v1, vcc
	v_cndmask_b32_e32 v0, v2, v0, vcc
	scratch_load_dwordx4 v[2:5], off, s33 offset:1084 ; 16-byte Folded Reload
	v_mul_f64 v[0:1], v[0:1], s[0:1]
	v_readlane_b32 s0, v63, 36
	s_waitcnt vmcnt(0)
	v_mul_f64 v[0:1], v[4:5], v[0:1]
	scratch_load_dwordx4 v[2:5], off, s33 offset:1068 ; 16-byte Folded Reload
	s_waitcnt vmcnt(0)
	v_mul_f64 v[0:1], v[4:5], v[0:1]
	scratch_load_dwordx4 v[2:5], off, s33 offset:1116 ; 16-byte Folded Reload
	;; [unrolled: 3-line block ×3, first 2 shown]
	scratch_load_dword a63, off, s33        ; 4-byte Folded Reload
	scratch_load_dword a62, off, s33 offset:4 ; 4-byte Folded Reload
	scratch_load_dword a61, off, s33 offset:8 ; 4-byte Folded Reload
	;; [unrolled: 1-line block ×44, first 2 shown]
	s_waitcnt vmcnt(45)
	v_mul_f64 v[0:1], v[4:5], v[0:1]
	v_mul_f64 v[0:1], v[0:1], v[10:11]
	s_or_saveexec_b64 s[2:3], -1
	scratch_load_dword v63, off, s33 offset:1140 ; 4-byte Folded Reload
	scratch_load_dword v61, off, s33 offset:1144 ; 4-byte Folded Reload
	;; [unrolled: 1-line block ×3, first 2 shown]
	s_mov_b64 exec, s[2:3]
	s_mov_b32 s33, s0
	s_waitcnt vmcnt(0)
	s_setpc_b64 s[30:31]
.LBB0_298:
	s_or_b64 exec, exec, s[8:9]
                                        ; implicit-def: $vgpr10_vgpr11
	s_andn2_saveexec_b64 s[6:7], s[6:7]
	s_cbranch_execnz .LBB0_175
.LBB0_299:
	s_or_b64 exec, exec, s[6:7]
                                        ; implicit-def: $vgpr10_vgpr11
	s_andn2_saveexec_b64 s[4:5], s[4:5]
	s_cbranch_execnz .LBB0_189
.LBB0_300:
	s_or_b64 exec, exec, s[4:5]
                                        ; implicit-def: $vgpr10_vgpr11
	s_andn2_saveexec_b64 s[2:3], s[2:3]
	s_cbranch_execnz .LBB0_203
	s_branch .LBB0_216
.Lfunc_end0:
	.size	_Z15cuda_rys_pbf_dpPKdS0_S0_S0_, .Lfunc_end0-_Z15cuda_rys_pbf_dpPKdS0_S0_S0_
                                        ; -- End function
	.set .L_Z15cuda_rys_pbf_dpPKdS0_S0_S0_.num_vgpr, max(64, amdgpu.max_num_vgpr)
	.set .L_Z15cuda_rys_pbf_dpPKdS0_S0_S0_.num_agpr, max(64, amdgpu.max_num_agpr)
	.set .L_Z15cuda_rys_pbf_dpPKdS0_S0_S0_.numbered_sgpr, max(100, amdgpu.max_num_sgpr)
	.set .L_Z15cuda_rys_pbf_dpPKdS0_S0_S0_.num_named_barrier, max(0, amdgpu.max_num_named_barrier)
	.set .L_Z15cuda_rys_pbf_dpPKdS0_S0_S0_.private_seg_size, 1168
	.set .L_Z15cuda_rys_pbf_dpPKdS0_S0_S0_.uses_vcc, 1
	.set .L_Z15cuda_rys_pbf_dpPKdS0_S0_S0_.uses_flat_scratch, 1
	.set .L_Z15cuda_rys_pbf_dpPKdS0_S0_S0_.has_dyn_sized_stack, 1
	.set .L_Z15cuda_rys_pbf_dpPKdS0_S0_S0_.has_recursion, 1
	.set .L_Z15cuda_rys_pbf_dpPKdS0_S0_S0_.has_indirect_call, 1
	.section	.AMDGPU.csdata,"",@progbits
; Function info:
; codeLenInByte = 91656
; TotalNumSgprs: .L_Z15cuda_rys_pbf_dpPKdS0_S0_S0_.numbered_sgpr+6
; NumVgprs: max(64, amdgpu.max_num_vgpr)
; NumAgprs: max(64, amdgpu.max_num_agpr)
; TotalNumVgprs: totalnumvgprs(.L_Z15cuda_rys_pbf_dpPKdS0_S0_S0_.num_agpr, .L_Z15cuda_rys_pbf_dpPKdS0_S0_S0_.num_vgpr)
; ScratchSize: 1168
; MemoryBound: 0
	.text
	.protected	_Z16cuda_mat_J_PI_dpPKdPKiiS0_PdS0_ ; -- Begin function _Z16cuda_mat_J_PI_dpPKdPKiiS0_PdS0_
	.globl	_Z16cuda_mat_J_PI_dpPKdPKiiS0_PdS0_
	.p2align	8
	.type	_Z16cuda_mat_J_PI_dpPKdPKiiS0_PdS0_,@function
_Z16cuda_mat_J_PI_dpPKdPKiiS0_PdS0_:    ; @_Z16cuda_mat_J_PI_dpPKdPKiiS0_PdS0_
; %bb.0:
	s_mov_b64 s[50:51], s[4:5]
	s_load_dword s4, s[4:5], 0x10
	s_mov_b64 s[64:65], s[0:1]
	s_mov_b64 s[54:55], s[2:3]
	s_mov_b32 s32, 0
	s_waitcnt lgkmcnt(0)
	s_cmp_ge_i32 s8, s4
	s_cselect_b64 s[0:1], -1, 0
	s_cmp_gt_i32 s9, s8
	s_cselect_b64 s[2:3], -1, 0
	s_or_b64 s[0:1], s[2:3], s[0:1]
	s_and_b64 vcc, exec, s[0:1]
	s_cbranch_vccnz .LBB1_11
; %bb.1:
	s_load_dwordx2 s[66:67], s[50:51], 0x8
	s_load_dwordx2 s[0:1], s[50:51], 0x20
                                        ; implicit-def: $vgpr60 : SGPR spill to VGPR lane
	s_add_u32 s34, s50, 48
	s_mov_b32 s33, s10
	s_mov_b32 s38, s9
	;; [unrolled: 1-line block ×3, first 2 shown]
	s_waitcnt lgkmcnt(0)
	v_writelane_b32 v60, s0, 0
	s_mov_b64 s[52:53], s[6:7]
	s_addc_u32 s35, s51, 0
	v_writelane_b32 v60, s1, 1
	v_mov_b32_e32 v40, v0
	s_getpc_b64 s[36:37]
	s_add_u32 s36, s36, _Z16cuda_ij2intindexii@rel32@lo+4
	s_addc_u32 s37, s37, _Z16cuda_ij2intindexii@rel32@hi+12
	v_writelane_b32 v60, s4, 2
	s_mov_b64 s[4:5], s[64:65]
	s_mov_b64 s[6:7], s[54:55]
	;; [unrolled: 1-line block ×4, first 2 shown]
	s_mov_b32 s12, s48
	s_mov_b32 s13, s38
	;; [unrolled: 1-line block ×3, first 2 shown]
	v_mov_b32_e32 v31, v0
	v_mov_b32_e32 v0, s48
	;; [unrolled: 1-line block ×3, first 2 shown]
	s_swappc_b64 s[30:31], s[36:37]
	s_ashr_i32 s49, s48, 31
	s_lshl_b64 s[0:1], s[48:49], 2
	s_add_u32 s0, s66, s0
	s_addc_u32 s1, s67, s1
	s_ashr_i32 s39, s38, 31
	s_lshl_b64 s[2:3], s[38:39], 2
	s_add_u32 s2, s66, s2
	v_writelane_b32 v60, s66, 3
	s_addc_u32 s3, s67, s3
	s_load_dword s15, s[0:1], 0x0
	s_load_dword s16, s[2:3], 0x0
	v_accvgpr_write_b32 a33, v1             ;  Reload Reuse
	v_accvgpr_write_b32 a34, v0             ;  Reload Reuse
	s_mov_b64 s[4:5], s[64:65]
	s_mov_b64 s[6:7], s[54:55]
	;; [unrolled: 1-line block ×4, first 2 shown]
	s_mov_b32 s12, s48
	s_mov_b32 s13, s38
	;; [unrolled: 1-line block ×3, first 2 shown]
	v_mov_b32_e32 v31, v40
	s_waitcnt lgkmcnt(0)
	v_mov_b32_e32 v0, s15
	v_mov_b32_e32 v1, s16
	v_writelane_b32 v60, s67, 4
	s_swappc_b64 s[30:31], s[36:37]
	s_load_dword s0, s[50:51], 0x10
	v_bfe_u32 v43, v40, 10, 10
	v_and_b32_e32 v42, 0x3ff, v40
	v_lshlrev_b32_e32 v44, 3, v43
	v_mov_b32_e32 v57, 0
	v_lshl_add_u32 v45, v42, 6, v44
	v_mov_b32_e32 v56, v57
	ds_write_b64 v45, v[56:57]
	s_waitcnt lgkmcnt(0)
	v_cmp_gt_i32_e32 vcc, s0, v42
	s_mov_b64 s[0:1], exec
	v_writelane_b32 v60, s0, 5
	s_nop 1
	v_writelane_b32 v60, s1, 6
	s_and_b64 s[0:1], s[0:1], vcc
	s_mov_b64 exec, s[0:1]
	s_cbranch_execz .LBB1_9
; %bb.2:
	s_load_dwordx2 s[2:3], s[50:51], 0x0
	s_load_dwordx2 s[0:1], s[50:51], 0x18
	;; [unrolled: 1-line block ×3, first 2 shown]
	v_ashrrev_i32_e32 v1, 31, v0
	v_lshlrev_b32_e32 v56, 2, v43
	v_mov_b32_e32 v46, 0x3ff00000
	s_waitcnt lgkmcnt(0)
	v_writelane_b32 v60, s0, 7
	v_mov_b32_e32 v58, v42
	s_nop 0
	v_writelane_b32 v60, s1, 8
	s_lshl_b32 s0, s48, 3
	s_ashr_i32 s1, s0, 31
	s_lshl_b64 s[0:1], s[0:1], 3
	s_add_u32 s0, s2, s0
	v_writelane_b32 v60, s0, 9
	s_addc_u32 s0, s3, s1
	v_writelane_b32 v60, s0, 10
	s_lshl_b32 s0, s38, 3
	s_ashr_i32 s1, s0, 31
	s_lshl_b64 s[0:1], s[0:1], 3
	s_add_u32 s0, s2, s0
	v_writelane_b32 v60, s0, 11
	v_writelane_b32 v60, s2, 12
	s_addc_u32 s0, s3, s1
	s_nop 0
	v_writelane_b32 v60, s3, 13
	v_writelane_b32 v60, s0, 14
	s_load_dwordx2 s[0:1], s[50:51], 0x8
	v_writelane_b32 v60, s4, 15
	s_nop 1
	v_writelane_b32 v60, s5, 16
	v_writelane_b32 v60, s33, 17
	;; [unrolled: 1-line block ×3, first 2 shown]
	v_lshl_add_u64 v[0:1], v[0:1], 3, s[4:5]
	v_accvgpr_write_b32 a35, v1             ;  Reload Reuse
	v_writelane_b32 v60, s39, 19
	v_writelane_b32 v60, s48, 20
	v_accvgpr_write_b32 a36, v0             ;  Reload Reuse
	s_waitcnt lgkmcnt(0)
	v_lshl_add_u64 v[0:1], s[0:1], 0, v[56:57]
	v_writelane_b32 v60, s49, 21
	v_writelane_b32 v60, s50, 22
	v_accvgpr_write_b32 a37, v1             ;  Reload Reuse
	v_accvgpr_write_b32 a38, v0             ;  Reload Reuse
	v_writelane_b32 v60, s51, 23
	v_writelane_b32 v60, s52, 24
	s_mov_b64 s[0:1], 0
	s_nop 0
	v_writelane_b32 v60, s53, 25
	v_writelane_b32 v60, s54, 26
	s_nop 1
	v_writelane_b32 v60, s55, 27
	v_writelane_b32 v60, s64, 28
	s_nop 1
	v_writelane_b32 v60, s65, 29
	s_branch .LBB1_4
.LBB1_3:                                ;   in Loop: Header=BB1_4 Depth=1
	v_readlane_b32 s0, v60, 32
	v_readlane_b32 s1, v60, 33
	s_or_b64 exec, exec, s[0:1]
	v_readlane_b32 s2, v60, 30
	v_add_u32_e32 v58, 8, v58
	v_readlane_b32 s0, v60, 2
	v_readlane_b32 s3, v60, 31
	s_nop 0
	v_cmp_le_i32_e32 vcc, s0, v58
	s_or_b64 s[0:1], vcc, s[2:3]
	s_andn2_b64 exec, exec, s[0:1]
	s_cbranch_execz .LBB1_9
.LBB1_4:                                ; =>This Loop Header: Depth=1
                                        ;     Child Loop BB1_7 Depth 2
	v_writelane_b32 v60, s0, 30
	v_cmp_le_u32_e32 vcc, v43, v58
	s_nop 0
	v_writelane_b32 v60, s1, 31
	s_mov_b64 s[0:1], exec
	v_writelane_b32 v60, s0, 32
	s_nop 1
	v_writelane_b32 v60, s1, 33
	s_and_b64 s[0:1], s[0:1], vcc
	s_mov_b64 exec, s[0:1]
	s_cbranch_execz .LBB1_3
; %bb.5:                                ;   in Loop: Header=BB1_4 Depth=1
	v_readlane_b32 s0, v60, 3
	v_mov_b32_e32 v59, v57
	v_readlane_b32 s1, v60, 4
	v_lshlrev_b32_e32 v56, 3, v58
	v_mov_b32_e32 v47, v43
	v_lshl_add_u64 v[0:1], v[58:59], 2, s[0:1]
	global_load_dword v41, v[0:1], off
	v_readlane_b32 s0, v60, 12
	v_readlane_b32 s1, v60, 13
	v_accvgpr_write_b32 a41, v59            ;  Reload Reuse
	v_accvgpr_write_b32 a42, v58            ;  Reload Reuse
	v_lshl_add_u64 v[0:1], v[56:57], 3, s[0:1]
	v_accvgpr_write_b32 a39, v1             ;  Reload Reuse
	v_accvgpr_write_b32 a40, v0             ;  Reload Reuse
	v_accvgpr_read_b32 v1, a37              ;  Reload Reuse
	s_mov_b64 s[0:1], 0
	v_mov_b32_e32 v56, v44
	v_accvgpr_read_b32 v0, a38              ;  Reload Reuse
	s_branch .LBB1_7
.LBB1_6:                                ;   in Loop: Header=BB1_7 Depth=2
	v_readlane_b32 s0, v60, 36
	v_readlane_b32 s1, v60, 37
	s_or_b64 exec, exec, s[0:1]
	v_add_u32_e32 v47, 8, v47
	v_accvgpr_read_b32 v1, a43              ;  Reload Reuse
	v_readlane_b32 s0, v60, 34
	v_accvgpr_read_b32 v0, a44              ;  Reload Reuse
	v_cmp_gt_u32_e32 vcc, v47, v58
	v_readlane_b32 s1, v60, 35
	v_lshl_add_u64 v[0:1], v[0:1], 0, 32
	s_or_b64 s[0:1], vcc, s[0:1]
	v_add_u32_e32 v56, 64, v56
	s_andn2_b64 exec, exec, s[0:1]
	s_cbranch_execz .LBB1_3
.LBB1_7:                                ;   Parent Loop BB1_4 Depth=1
                                        ; =>  This Inner Loop Header: Depth=2
	v_accvgpr_write_b32 a43, v1             ;  Reload Reuse
	v_accvgpr_write_b32 a44, v0             ;  Reload Reuse
	global_load_dword v1, v[0:1], off
	s_add_u32 s8, s50, 48
	v_writelane_b32 v60, s0, 34
	s_addc_u32 s9, s51, 0
	s_mov_b64 s[4:5], s[64:65]
	v_writelane_b32 v60, s1, 35
	s_getpc_b64 s[0:1]
	s_add_u32 s0, s0, _Z16cuda_ij2intindexii@rel32@lo+4
	s_addc_u32 s1, s1, _Z16cuda_ij2intindexii@rel32@hi+12
	s_mov_b64 s[6:7], s[54:55]
	s_mov_b64 s[10:11], s[52:53]
	s_mov_b32 s12, s48
	s_mov_b32 s13, s38
	;; [unrolled: 1-line block ×3, first 2 shown]
	v_mov_b32_e32 v31, v40
	s_waitcnt vmcnt(1)
	v_mov_b32_e32 v0, v41
	s_swappc_b64 s[30:31], s[0:1]
	v_ashrrev_i32_e32 v1, 31, v0
	v_readlane_b32 s0, v60, 15
	v_lshlrev_b64 v[0:1], 3, v[0:1]
	v_readlane_b32 s1, v60, 16
	v_accvgpr_read_b32 v5, a35              ;  Reload Reuse
	v_accvgpr_read_b32 v4, a36              ;  Reload Reuse
	v_lshl_add_u64 v[2:3], s[0:1], 0, v[0:1]
	v_readlane_b32 s0, v60, 7
	v_readlane_b32 s1, v60, 8
	global_load_dwordx2 v[4:5], v[4:5], off
	s_nop 0
	global_load_dwordx2 v[6:7], v[2:3], off
	v_lshl_add_u64 v[0:1], s[0:1], 0, v[0:1]
	global_load_dwordx2 v[2:3], v[0:1], off
	s_mov_b32 s0, 0x97d889bc
	s_mov_b32 s1, 0x3c9cd2b2
	s_waitcnt vmcnt(1)
	v_mul_f64 v[0:1], v[4:5], v[6:7]
	s_waitcnt vmcnt(0)
	v_mul_f64 v[0:1], v[0:1], v[2:3]
	v_cmp_nlt_f64_e64 s[0:1], |v[0:1]|, s[0:1]
	s_mov_b64 s[2:3], exec
	v_writelane_b32 v60, s2, 36
	s_and_b64 s[0:1], s[2:3], s[0:1]
	s_nop 0
	v_writelane_b32 v60, s3, 37
	s_mov_b64 exec, s[0:1]
	s_cbranch_execz .LBB1_6
; %bb.8:                                ;   in Loop: Header=BB1_7 Depth=2
	v_readlane_b32 s2, v60, 9
	v_readlane_b32 s0, v60, 12
	s_add_u32 s8, s50, 48
	v_mov_b32_e32 v0, s2
	v_readlane_b32 s2, v60, 10
	v_accvgpr_write_b32 a45, v3             ;  Reload Reuse
	v_readlane_b32 s1, v60, 13
	v_mov_b32_e32 v1, s2
	v_readlane_b32 s2, v60, 11
	s_addc_u32 s9, s51, 0
	v_accvgpr_write_b32 a46, v2             ;  Reload Reuse
	v_mov_b32_e32 v2, s2
	v_readlane_b32 s2, v60, 14
	v_accvgpr_read_b32 v5, a39              ;  Reload Reuse
	v_lshl_add_u64 v[6:7], v[56:57], 3, s[0:1]
	s_getpc_b64 s[0:1]
	s_add_u32 s0, s0, _Z15cuda_rys_pbf_dpPKdS0_S0_S0_@rel32@lo+4
	s_addc_u32 s1, s1, _Z15cuda_rys_pbf_dpPKdS0_S0_S0_@rel32@hi+12
	s_mov_b64 s[4:5], s[64:65]
	s_mov_b64 s[6:7], s[54:55]
	;; [unrolled: 1-line block ×3, first 2 shown]
	s_mov_b32 s12, s48
	s_mov_b32 s13, s38
	;; [unrolled: 1-line block ×3, first 2 shown]
	v_mov_b32_e32 v31, v40
	v_mov_b32_e32 v3, s2
	v_accvgpr_read_b32 v4, a40              ;  Reload Reuse
	s_or_saveexec_b64 s[100:101], -1
	v_accvgpr_write_b32 a32, v60
	s_mov_b64 exec, s[100:101]
	v_accvgpr_write_b32 a47, v57            ;  Reload Reuse
	v_accvgpr_write_b32 a48, v56            ;  Reload Reuse
	s_swappc_b64 s[30:31], s[0:1]
	v_accvgpr_read_b32 v59, a41             ;  Reload Reuse
	v_accvgpr_read_b32 v57, a47             ;  Reload Reuse
	;; [unrolled: 1-line block ×4, first 2 shown]
	s_or_saveexec_b64 s[100:101], -1
	v_accvgpr_read_b32 v60, a32
	s_mov_b64 exec, s[100:101]
	ds_read_b64 v[2:3], v45
	v_accvgpr_read_b32 v5, a45              ;  Reload Reuse
	v_accvgpr_read_b32 v4, a46              ;  Reload Reuse
	v_cmp_eq_u32_e32 vcc, v58, v47
	v_readlane_b32 s64, v60, 28
	v_readlane_b32 s54, v60, 26
	;; [unrolled: 1-line block ×4, first 2 shown]
	v_mul_f64 v[0:1], v[4:5], v[0:1]
	v_cndmask_b32_e32 v5, 2.0, v46, vcc
	v_mov_b32_e32 v4, v57
	v_readlane_b32 s65, v60, 29
	v_readlane_b32 s55, v60, 27
	;; [unrolled: 1-line block ×7, first 2 shown]
	s_waitcnt lgkmcnt(0)
	v_fmac_f64_e32 v[2:3], v[4:5], v[0:1]
	v_readlane_b32 s49, v60, 21
	v_readlane_b32 s39, v60, 19
	ds_write_b64 v45, v[2:3]
	s_branch .LBB1_6
.LBB1_9:
	v_readlane_b32 s0, v60, 5
	v_readlane_b32 s1, v60, 6
	s_or_b64 exec, exec, s[0:1]
	v_or_b32_e32 v0, v42, v43
	v_cmp_eq_u32_e32 vcc, 0, v0
	s_waitcnt lgkmcnt(0)
	s_barrier
	s_and_saveexec_b64 s[0:1], vcc
	s_cbranch_execz .LBB1_11
; %bb.10:
	v_mov_b32_e32 v2, 0
	ds_read_b128 v[4:7], v2
	ds_read_b128 v[8:11], v2 offset:16
	ds_read_b128 v[12:15], v2 offset:32
	;; [unrolled: 1-line block ×3, first 2 shown]
	v_accvgpr_read_b32 v1, a33              ;  Reload Reuse
	v_accvgpr_read_b32 v0, a34              ;  Reload Reuse
	v_readlane_b32 s0, v60, 0
	s_waitcnt lgkmcnt(3)
	v_add_f64 v[4:5], v[4:5], 0
	v_add_f64 v[4:5], v[6:7], v[4:5]
	s_waitcnt lgkmcnt(2)
	v_add_f64 v[4:5], v[8:9], v[4:5]
	v_add_f64 v[4:5], v[10:11], v[4:5]
	s_waitcnt lgkmcnt(1)
	v_add_f64 v[8:9], v[12:13], v[4:5]
	ds_read_b128 v[4:7], v2 offset:64
	v_add_f64 v[8:9], v[14:15], v[8:9]
	s_waitcnt lgkmcnt(1)
	v_add_f64 v[12:13], v[16:17], v[8:9]
	ds_read_b128 v[8:11], v2 offset:80
	;; [unrolled: 4-line block ×25, first 2 shown]
	v_add_f64 v[8:9], v[10:11], v[8:9]
	s_waitcnt lgkmcnt(1)
	v_add_f64 v[8:9], v[12:13], v[8:9]
	v_add_f64 v[12:13], v[14:15], v[8:9]
	ds_read_b128 v[8:11], v2 offset:464
	s_waitcnt lgkmcnt(1)
	v_add_f64 v[4:5], v[4:5], v[12:13]
	ds_read_b128 v[12:15], v2 offset:480
	v_add_f64 v[6:7], v[6:7], v[4:5]
	ds_read_b128 v[2:5], v2 offset:496
	s_waitcnt lgkmcnt(2)
	v_add_f64 v[6:7], v[8:9], v[6:7]
	v_add_f64 v[6:7], v[10:11], v[6:7]
	s_waitcnt lgkmcnt(1)
	v_add_f64 v[6:7], v[12:13], v[6:7]
	v_add_f64 v[6:7], v[14:15], v[6:7]
	v_ashrrev_i32_e32 v1, 31, v0
	v_readlane_b32 s1, v60, 1
	s_waitcnt lgkmcnt(0)
	v_add_f64 v[2:3], v[2:3], v[6:7]
	v_add_f64 v[2:3], v[4:5], v[2:3]
	v_lshl_add_u64 v[0:1], v[0:1], 3, s[0:1]
	global_store_dwordx2 v[0:1], v[2:3], off
.LBB1_11:
	s_endpgm
	.section	.rodata,"a",@progbits
	.p2align	6, 0x0
	.amdhsa_kernel _Z16cuda_mat_J_PI_dpPKdPKiiS0_PdS0_
		.amdhsa_group_segment_fixed_size 512
		.amdhsa_private_segment_fixed_size 1168
		.amdhsa_kernarg_size 304
		.amdhsa_user_sgpr_count 8
		.amdhsa_user_sgpr_dispatch_ptr 1
		.amdhsa_user_sgpr_queue_ptr 1
		.amdhsa_user_sgpr_kernarg_segment_ptr 1
		.amdhsa_user_sgpr_dispatch_id 1
		.amdhsa_user_sgpr_kernarg_preload_length 0
		.amdhsa_user_sgpr_kernarg_preload_offset 0
		.amdhsa_user_sgpr_private_segment_size 0
		.amdhsa_uses_dynamic_stack 1
		.amdhsa_enable_private_segment 1
		.amdhsa_system_sgpr_workgroup_id_x 1
		.amdhsa_system_sgpr_workgroup_id_y 1
		.amdhsa_system_sgpr_workgroup_id_z 1
		.amdhsa_system_sgpr_workgroup_info 0
		.amdhsa_system_vgpr_workitem_id 2
		.amdhsa_next_free_vgpr max(totalnumvgprs(_Z16cuda_mat_J_PI_dpPKdPKiiS0_PdS0_.num_agpr, _Z16cuda_mat_J_PI_dpPKdPKiiS0_PdS0_.num_vgpr), 1, 0)
		.amdhsa_next_free_sgpr max(_Z16cuda_mat_J_PI_dpPKdPKiiS0_PdS0_.numbered_sgpr+6, 1, 0)-6
		.amdhsa_accum_offset (((((alignto(max(1, _Z16cuda_mat_J_PI_dpPKdPKiiS0_PdS0_.num_vgpr), 4)/4)-1)&~65536)&63)+1)*4
		.amdhsa_reserve_vcc 1
		.amdhsa_float_round_mode_32 0
		.amdhsa_float_round_mode_16_64 0
		.amdhsa_float_denorm_mode_32 3
		.amdhsa_float_denorm_mode_16_64 3
		.amdhsa_dx10_clamp 1
		.amdhsa_ieee_mode 1
		.amdhsa_fp16_overflow 0
		.amdhsa_tg_split 0
		.amdhsa_exception_fp_ieee_invalid_op 0
		.amdhsa_exception_fp_denorm_src 0
		.amdhsa_exception_fp_ieee_div_zero 0
		.amdhsa_exception_fp_ieee_overflow 0
		.amdhsa_exception_fp_ieee_underflow 0
		.amdhsa_exception_fp_ieee_inexact 0
		.amdhsa_exception_int_div_zero 0
	.end_amdhsa_kernel
	.text
.Lfunc_end1:
	.size	_Z16cuda_mat_J_PI_dpPKdPKiiS0_PdS0_, .Lfunc_end1-_Z16cuda_mat_J_PI_dpPKdPKiiS0_PdS0_
                                        ; -- End function
	.set _Z16cuda_mat_J_PI_dpPKdPKiiS0_PdS0_.num_vgpr, max(61, amdgpu.max_num_vgpr)
	.set _Z16cuda_mat_J_PI_dpPKdPKiiS0_PdS0_.num_agpr, max(49, amdgpu.max_num_agpr)
	.set _Z16cuda_mat_J_PI_dpPKdPKiiS0_PdS0_.numbered_sgpr, max(102, amdgpu.max_num_sgpr)
	.set _Z16cuda_mat_J_PI_dpPKdPKiiS0_PdS0_.num_named_barrier, max(0, amdgpu.max_num_named_barrier)
	.set _Z16cuda_mat_J_PI_dpPKdPKiiS0_PdS0_.private_seg_size, 0+max(.L_Z15cuda_rys_pbf_dpPKdS0_S0_S0_.private_seg_size)
	.set _Z16cuda_mat_J_PI_dpPKdPKiiS0_PdS0_.uses_vcc, 1
	.set _Z16cuda_mat_J_PI_dpPKdPKiiS0_PdS0_.uses_flat_scratch, 1
	.set _Z16cuda_mat_J_PI_dpPKdPKiiS0_PdS0_.has_dyn_sized_stack, 1
	.set _Z16cuda_mat_J_PI_dpPKdPKiiS0_PdS0_.has_recursion, 1
	.set _Z16cuda_mat_J_PI_dpPKdPKiiS0_PdS0_.has_indirect_call, 1
	.section	.AMDGPU.csdata,"",@progbits
; Kernel info:
; codeLenInByte = 2828
; TotalNumSgprs: _Z16cuda_mat_J_PI_dpPKdPKiiS0_PdS0_.numbered_sgpr+6
; NumVgprs: _Z16cuda_mat_J_PI_dpPKdPKiiS0_PdS0_.num_vgpr
; NumAgprs: _Z16cuda_mat_J_PI_dpPKdPKiiS0_PdS0_.num_agpr
; TotalNumVgprs: totalnumvgprs(_Z16cuda_mat_J_PI_dpPKdPKiiS0_PdS0_.num_agpr, _Z16cuda_mat_J_PI_dpPKdPKiiS0_PdS0_.num_vgpr)
; ScratchSize: 1168
; MemoryBound: 0
; FloatMode: 240
; IeeeMode: 1
; LDSByteSize: 512 bytes/workgroup (compile time only)
; SGPRBlocks: (alignto(max(max(_Z16cuda_mat_J_PI_dpPKdPKiiS0_PdS0_.numbered_sgpr+extrasgprs(_Z16cuda_mat_J_PI_dpPKdPKiiS0_PdS0_.uses_vcc, _Z16cuda_mat_J_PI_dpPKdPKiiS0_PdS0_.uses_flat_scratch, 1), 1, 0), 1), 8)/8)-1
; VGPRBlocks: (alignto(max(max(totalnumvgprs(_Z16cuda_mat_J_PI_dpPKdPKiiS0_PdS0_.num_agpr, _Z16cuda_mat_J_PI_dpPKdPKiiS0_PdS0_.num_vgpr), 1, 0), 1), 8)/8)-1
; NumSGPRsForWavesPerEU: max(_Z16cuda_mat_J_PI_dpPKdPKiiS0_PdS0_.numbered_sgpr+6, 1, 0)
; NumVGPRsForWavesPerEU: max(totalnumvgprs(_Z16cuda_mat_J_PI_dpPKdPKiiS0_PdS0_.num_agpr, _Z16cuda_mat_J_PI_dpPKdPKiiS0_PdS0_.num_vgpr), 1, 0)
; AccumOffset: ((alignto(max(1, _Z16cuda_mat_J_PI_dpPKdPKiiS0_PdS0_.num_vgpr), 4)/4)-1+1)*4
; Occupancy: occupancy(8, 8, 512, 8, 8, max(_Z16cuda_mat_J_PI_dpPKdPKiiS0_PdS0_.numbered_sgpr+extrasgprs(_Z16cuda_mat_J_PI_dpPKdPKiiS0_PdS0_.uses_vcc, _Z16cuda_mat_J_PI_dpPKdPKiiS0_PdS0_.uses_flat_scratch, 1), 1, 0), max(totalnumvgprs(_Z16cuda_mat_J_PI_dpPKdPKiiS0_PdS0_.num_agpr, _Z16cuda_mat_J_PI_dpPKdPKiiS0_PdS0_.num_vgpr), 1, 0))
; WaveLimiterHint : 1
; COMPUTE_PGM_RSRC2:SCRATCH_EN: 1
; COMPUTE_PGM_RSRC2:USER_SGPR: 8
; COMPUTE_PGM_RSRC2:TRAP_HANDLER: 0
; COMPUTE_PGM_RSRC2:TGID_X_EN: 1
; COMPUTE_PGM_RSRC2:TGID_Y_EN: 1
; COMPUTE_PGM_RSRC2:TGID_Z_EN: 1
; COMPUTE_PGM_RSRC2:TIDIG_COMP_CNT: 2
; COMPUTE_PGM_RSRC3_GFX90A:ACCUM_OFFSET: (((alignto(max(1, _Z16cuda_mat_J_PI_dpPKdPKiiS0_PdS0_.num_vgpr), 4)/4)-1)&~65536)&63
; COMPUTE_PGM_RSRC3_GFX90A:TG_SPLIT: 0
	.text
	.protected	_Z16cuda_mat_K_PI_dpPKdPKiiS0_PdS0_ ; -- Begin function _Z16cuda_mat_K_PI_dpPKdPKiiS0_PdS0_
	.globl	_Z16cuda_mat_K_PI_dpPKdPKiiS0_PdS0_
	.p2align	8
	.type	_Z16cuda_mat_K_PI_dpPKdPKiiS0_PdS0_,@function
_Z16cuda_mat_K_PI_dpPKdPKiiS0_PdS0_:    ; @_Z16cuda_mat_K_PI_dpPKdPKiiS0_PdS0_
; %bb.0:
	s_load_dword s66, s[4:5], 0x10
	s_mov_b64 s[64:65], s[0:1]
	s_mov_b64 s[54:55], s[2:3]
	s_mov_b32 s32, 0
	s_waitcnt lgkmcnt(0)
	s_cmp_ge_i32 s8, s66
	s_cselect_b64 s[0:1], -1, 0
	s_cmp_gt_i32 s9, s8
	s_cselect_b64 s[2:3], -1, 0
	s_or_b64 s[0:1], s[2:3], s[0:1]
	s_and_b64 vcc, exec, s[0:1]
	s_cbranch_vccnz .LBB2_11
; %bb.1:
	s_load_dwordx2 s[0:1], s[4:5], 0x20
	s_mov_b64 s[50:51], s[4:5]
	s_mov_b32 s48, s8
                                        ; implicit-def: $vgpr57 : SGPR spill to VGPR lane
	s_add_u32 s8, s50, 48
	s_mov_b32 s33, s10
	s_mov_b32 s38, s9
	s_mov_b64 s[52:53], s[6:7]
	s_waitcnt lgkmcnt(0)
	v_writelane_b32 v57, s0, 0
	s_addc_u32 s9, s51, 0
	v_mov_b32_e32 v40, v0
	v_writelane_b32 v57, s1, 1
	s_getpc_b64 s[0:1]
	s_add_u32 s0, s0, _Z16cuda_ij2intindexii@rel32@lo+4
	s_addc_u32 s1, s1, _Z16cuda_ij2intindexii@rel32@hi+12
	s_mov_b64 s[4:5], s[64:65]
	s_mov_b64 s[6:7], s[54:55]
	;; [unrolled: 1-line block ×3, first 2 shown]
	s_mov_b32 s12, s48
	s_mov_b32 s13, s38
	;; [unrolled: 1-line block ×3, first 2 shown]
	v_mov_b32_e32 v31, v0
	v_mov_b32_e32 v0, s48
	;; [unrolled: 1-line block ×3, first 2 shown]
	s_swappc_b64 s[30:31], s[0:1]
	v_bfe_u32 v45, v40, 10, 10
	v_and_b32_e32 v44, 0x3ff, v40
	v_lshlrev_b32_e32 v46, 3, v45
	v_mov_b32_e32 v59, 0
	v_accvgpr_write_b32 a33, v1             ;  Reload Reuse
	v_accvgpr_write_b32 a34, v0             ;  Reload Reuse
	v_lshl_add_u32 v47, v44, 6, v46
	v_mov_b32_e32 v58, v59
	ds_write_b64 v47, v[58:59]
	v_cmp_gt_i32_e32 vcc, s66, v44
	s_mov_b64 s[0:1], exec
	v_writelane_b32 v57, s0, 2
	s_nop 1
	v_writelane_b32 v57, s1, 3
	s_and_b64 s[0:1], s[0:1], vcc
	s_mov_b64 exec, s[0:1]
	s_cbranch_execz .LBB2_9
; %bb.2:
	s_load_dwordx4 s[4:7], s[50:51], 0x0
	s_load_dwordx2 s[0:1], s[50:51], 0x18
	v_lshlrev_b32_e32 v58, 2, v45
	s_waitcnt lgkmcnt(0)
	v_writelane_b32 v57, s0, 4
	s_nop 1
	v_writelane_b32 v57, s1, 5
	s_load_dwordx2 s[0:1], s[50:51], 0x28
	s_waitcnt lgkmcnt(0)
	v_writelane_b32 v57, s0, 6
	s_nop 1
	v_writelane_b32 v57, s1, 7
	s_lshl_b32 s0, s48, 3
	s_ashr_i32 s1, s0, 31
	s_lshl_b64 s[0:1], s[0:1], 3
	s_add_u32 s0, s4, s0
	v_writelane_b32 v57, s0, 8
	s_addc_u32 s0, s5, s1
	v_writelane_b32 v57, s0, 9
	s_lshl_b32 s0, s38, 3
	s_ashr_i32 s1, s0, 31
	s_lshl_b64 s[0:1], s[0:1], 3
	s_add_u32 s0, s4, s0
	v_writelane_b32 v57, s0, 10
	s_addc_u32 s0, s5, s1
	s_ashr_i32 s49, s48, 31
	v_writelane_b32 v57, s0, 11
	s_lshl_b64 s[0:1], s[48:49], 2
	s_add_u32 s0, s6, s0
	s_addc_u32 s1, s7, s1
	s_load_dword s8, s[0:1], 0x0
	s_ashr_i32 s39, s38, 31
	s_lshl_b64 s[2:3], s[38:39], 2
	s_add_u32 s2, s6, s2
	s_addc_u32 s3, s7, s3
	s_waitcnt lgkmcnt(0)
	v_writelane_b32 v57, s8, 12
	s_load_dword s8, s[2:3], 0x0
                                        ; kill: killed $sgpr0 killed $sgpr1
	v_cmp_gt_u32_e64 s[0:1], s66, v45
                                        ; kill: killed $sgpr2 killed $sgpr3
	s_waitcnt lgkmcnt(0)
	v_writelane_b32 v57, s8, 13
	v_writelane_b32 v57, s0, 14
	s_nop 1
	v_writelane_b32 v57, s1, 15
	v_writelane_b32 v57, s4, 16
	s_mov_b64 s[0:1], 0
	s_nop 0
	v_writelane_b32 v57, s5, 17
	v_writelane_b32 v57, s6, 18
	;; [unrolled: 1-line block ×5, first 2 shown]
	v_lshl_add_u64 v[0:1], s[6:7], 0, v[58:59]
	v_accvgpr_write_b32 a35, v1             ;  Reload Reuse
	v_writelane_b32 v57, s39, 22
	v_writelane_b32 v57, s48, 23
	v_accvgpr_write_b32 a36, v0             ;  Reload Reuse
	v_mov_b32_e32 v0, v44
	v_writelane_b32 v57, s49, 24
	v_writelane_b32 v57, s50, 25
	s_nop 1
	v_writelane_b32 v57, s51, 26
	v_writelane_b32 v57, s52, 27
	s_nop 1
	;; [unrolled: 3-line block ×4, first 2 shown]
	v_writelane_b32 v57, s65, 32
	v_writelane_b32 v57, s66, 33
	s_branch .LBB2_4
.LBB2_3:                                ;   in Loop: Header=BB2_4 Depth=1
	v_readlane_b32 s0, v57, 36
	v_readlane_b32 s1, v57, 37
	s_or_b64 exec, exec, s[0:1]
	v_accvgpr_read_b32 v1, a37              ;  Reload Reuse
	v_accvgpr_read_b32 v0, a38              ;  Reload Reuse
	v_readlane_b32 s0, v57, 34
	v_add_u32_e32 v0, 8, v0
	v_readlane_b32 s1, v57, 35
	v_cmp_le_i32_e32 vcc, s66, v0
	s_or_b64 s[0:1], vcc, s[0:1]
	s_andn2_b64 exec, exec, s[0:1]
	s_cbranch_execz .LBB2_9
.LBB2_4:                                ; =>This Loop Header: Depth=1
                                        ;     Child Loop BB2_7 Depth 2
	v_writelane_b32 v57, s0, 34
	v_mov_b32_e32 v1, v59
	v_mov_b32_e32 v2, v0
	v_writelane_b32 v57, s1, 35
	s_add_u32 s8, s50, 48
	v_readlane_b32 s0, v57, 16
	v_readlane_b32 s2, v57, 18
	;; [unrolled: 1-line block ×4, first 2 shown]
	s_addc_u32 s9, s51, 0
	v_lshl_add_u64 v[0:1], v[0:1], 2, s[2:3]
	global_load_dword v41, v[0:1], off
	v_readlane_b32 s2, v57, 12
	s_getpc_b64 s[0:1]
	s_add_u32 s0, s0, _Z16cuda_ij2intindexii@rel32@lo+4
	s_addc_u32 s1, s1, _Z16cuda_ij2intindexii@rel32@hi+12
	s_mov_b64 s[4:5], s[64:65]
	s_mov_b64 s[6:7], s[54:55]
	;; [unrolled: 1-line block ×3, first 2 shown]
	s_mov_b32 s12, s48
	s_mov_b32 s13, s38
	;; [unrolled: 1-line block ×3, first 2 shown]
	v_mov_b32_e32 v31, v40
	v_mov_b32_e32 v0, s2
	v_accvgpr_write_b32 a37, v3             ;  Reload Reuse
	v_accvgpr_write_b32 a38, v2             ;  Reload Reuse
	s_waitcnt vmcnt(0)
	v_mov_b32_e32 v1, v41
	s_swappc_b64 s[30:31], s[0:1]
	s_mov_b64 s[2:3], exec
	v_readlane_b32 s0, v57, 14
	v_readlane_b32 s1, v57, 15
	v_writelane_b32 v57, s2, 36
	s_and_b64 s[0:1], s[2:3], s[0:1]
	s_nop 0
	v_writelane_b32 v57, s3, 37
	s_mov_b64 exec, s[0:1]
	s_cbranch_execz .LBB2_3
; %bb.5:                                ;   in Loop: Header=BB2_4 Depth=1
	v_accvgpr_read_b32 v3, a37              ;  Reload Reuse
	v_accvgpr_read_b32 v2, a38              ;  Reload Reuse
	v_readlane_b32 s0, v57, 16
	v_lshlrev_b32_e32 v58, 3, v2
	v_readlane_b32 s1, v57, 17
	v_ashrrev_i32_e32 v1, 31, v0
	v_mov_b32_e32 v56, v45
	v_lshl_add_u64 v[2:3], v[58:59], 3, s[0:1]
	v_readlane_b32 s0, v57, 6
	v_readlane_b32 s1, v57, 7
	v_accvgpr_write_b32 a39, v3             ;  Reload Reuse
	v_accvgpr_write_b32 a40, v2             ;  Reload Reuse
	v_lshl_add_u64 v[0:1], v[0:1], 3, s[0:1]
	v_accvgpr_write_b32 a41, v1             ;  Reload Reuse
	v_accvgpr_write_b32 a42, v0             ;  Reload Reuse
	v_accvgpr_read_b32 v1, a35              ;  Reload Reuse
	s_mov_b64 s[0:1], 0
	v_mov_b32_e32 v58, v46
	v_accvgpr_read_b32 v0, a36              ;  Reload Reuse
	v_readlane_b32 s2, v57, 18
	v_readlane_b32 s3, v57, 19
	s_branch .LBB2_7
.LBB2_6:                                ;   in Loop: Header=BB2_7 Depth=2
	v_readlane_b32 s0, v57, 40
	v_readlane_b32 s1, v57, 41
	s_or_b64 exec, exec, s[0:1]
	v_add_u32_e32 v56, 8, v56
	v_accvgpr_read_b32 v1, a43              ;  Reload Reuse
	v_readlane_b32 s0, v57, 38
	v_accvgpr_read_b32 v0, a44              ;  Reload Reuse
	v_cmp_le_i32_e32 vcc, s66, v56
	v_readlane_b32 s1, v57, 39
	v_lshl_add_u64 v[0:1], v[0:1], 0, 32
	s_or_b64 s[0:1], vcc, s[0:1]
	v_add_u32_e32 v58, 64, v58
	s_andn2_b64 exec, exec, s[0:1]
	s_cbranch_execz .LBB2_3
.LBB2_7:                                ;   Parent Loop BB2_4 Depth=1
                                        ; =>  This Inner Loop Header: Depth=2
	v_accvgpr_write_b32 a43, v1             ;  Reload Reuse
	global_load_dword v43, v[0:1], off
	v_writelane_b32 v57, s0, 38
	s_add_u32 s34, s50, 48
	s_addc_u32 s35, s51, 0
	v_writelane_b32 v57, s1, 39
	v_accvgpr_write_b32 a44, v0             ;  Reload Reuse
	v_readlane_b32 s0, v57, 13
	s_getpc_b64 s[36:37]
	s_add_u32 s36, s36, _Z16cuda_ij2intindexii@rel32@lo+4
	s_addc_u32 s37, s37, _Z16cuda_ij2intindexii@rel32@hi+12
	s_mov_b64 s[4:5], s[64:65]
	s_mov_b64 s[6:7], s[54:55]
	;; [unrolled: 1-line block ×4, first 2 shown]
	s_mov_b32 s12, s48
	s_mov_b32 s13, s38
	;; [unrolled: 1-line block ×3, first 2 shown]
	v_mov_b32_e32 v31, v40
	v_mov_b32_e32 v0, s0
	s_waitcnt vmcnt(0)
	v_mov_b32_e32 v1, v43
	s_swappc_b64 s[30:31], s[36:37]
	v_mov_b32_e32 v42, v0
	s_mov_b64 s[4:5], s[64:65]
	s_mov_b64 s[6:7], s[54:55]
	;; [unrolled: 1-line block ×4, first 2 shown]
	s_mov_b32 s12, s48
	s_mov_b32 s13, s38
	;; [unrolled: 1-line block ×3, first 2 shown]
	v_mov_b32_e32 v31, v40
	v_mov_b32_e32 v0, v41
	;; [unrolled: 1-line block ×3, first 2 shown]
	s_swappc_b64 s[30:31], s[36:37]
	v_readlane_b32 s0, v57, 6
	v_ashrrev_i32_e32 v43, 31, v42
	v_readlane_b32 s1, v57, 7
	v_accvgpr_read_b32 v5, a41              ;  Reload Reuse
	v_accvgpr_read_b32 v4, a42              ;  Reload Reuse
	v_lshl_add_u64 v[2:3], v[42:43], 3, s[0:1]
	v_readlane_b32 s0, v57, 4
	v_ashrrev_i32_e32 v1, 31, v0
	v_readlane_b32 s1, v57, 5
	global_load_dwordx2 v[4:5], v[4:5], off
	s_nop 0
	global_load_dwordx2 v[6:7], v[2:3], off
	v_lshl_add_u64 v[0:1], v[0:1], 3, s[0:1]
	global_load_dwordx2 v[2:3], v[0:1], off
	s_mov_b32 s0, 0x97d889bc
	s_mov_b32 s1, 0x3c9cd2b2
	s_waitcnt vmcnt(1)
	v_mul_f64 v[0:1], v[4:5], v[6:7]
	s_waitcnt vmcnt(0)
	v_mul_f64 v[0:1], v[0:1], v[2:3]
	v_cmp_nlt_f64_e64 s[0:1], |v[0:1]|, s[0:1]
	s_mov_b64 s[2:3], exec
	v_writelane_b32 v57, s2, 40
	s_and_b64 s[0:1], s[2:3], s[0:1]
	s_nop 0
	v_writelane_b32 v57, s3, 41
	s_mov_b64 exec, s[0:1]
	s_cbranch_execz .LBB2_6
; %bb.8:                                ;   in Loop: Header=BB2_7 Depth=2
	v_readlane_b32 s0, v57, 16
	v_readlane_b32 s2, v57, 18
	v_readlane_b32 s2, v57, 8
	s_add_u32 s8, s50, 48
	v_accvgpr_write_b32 a45, v3             ;  Reload Reuse
	v_mov_b32_e32 v0, s2
	v_readlane_b32 s2, v57, 9
	v_readlane_b32 s1, v57, 17
	s_addc_u32 s9, s51, 0
	v_mov_b32_e32 v1, s2
	v_readlane_b32 s2, v57, 10
	v_accvgpr_write_b32 a46, v2             ;  Reload Reuse
	v_accvgpr_read_b32 v3, a39              ;  Reload Reuse
	v_mov_b32_e32 v4, s2
	v_readlane_b32 s2, v57, 11
	v_readlane_b32 s3, v57, 19
	v_lshl_add_u64 v[6:7], v[58:59], 3, s[0:1]
	s_getpc_b64 s[0:1]
	s_add_u32 s0, s0, _Z15cuda_rys_pbf_dpPKdS0_S0_S0_@rel32@lo+4
	s_addc_u32 s1, s1, _Z15cuda_rys_pbf_dpPKdS0_S0_S0_@rel32@hi+12
	s_mov_b64 s[4:5], s[64:65]
	s_mov_b64 s[6:7], s[54:55]
	;; [unrolled: 1-line block ×3, first 2 shown]
	s_mov_b32 s12, s48
	s_mov_b32 s13, s38
	;; [unrolled: 1-line block ×3, first 2 shown]
	v_mov_b32_e32 v31, v40
	v_accvgpr_read_b32 v2, a40              ;  Reload Reuse
	v_mov_b32_e32 v5, s2
	s_or_saveexec_b64 s[100:101], -1
	v_accvgpr_write_b32 a32, v57
	s_mov_b64 exec, s[100:101]
	v_accvgpr_write_b32 a47, v59            ;  Reload Reuse
	v_accvgpr_write_b32 a48, v58            ;  Reload Reuse
	s_swappc_b64 s[30:31], s[0:1]
	v_accvgpr_read_b32 v59, a47             ;  Reload Reuse
	v_accvgpr_read_b32 v58, a48             ;  Reload Reuse
	s_or_saveexec_b64 s[100:101], -1
	v_accvgpr_read_b32 v57, a32
	s_mov_b64 exec, s[100:101]
	ds_read_b64 v[2:3], v47
	v_accvgpr_read_b32 v5, a45              ;  Reload Reuse
	v_readlane_b32 s64, v57, 31
	v_readlane_b32 s54, v57, 29
	;; [unrolled: 1-line block ×4, first 2 shown]
	v_accvgpr_read_b32 v4, a46              ;  Reload Reuse
	v_readlane_b32 s66, v57, 33
	v_readlane_b32 s65, v57, 32
	;; [unrolled: 1-line block ×8, first 2 shown]
	s_waitcnt lgkmcnt(0)
	v_fmac_f64_e32 v[2:3], v[4:5], v[0:1]
	v_readlane_b32 s49, v57, 24
	v_readlane_b32 s39, v57, 22
	ds_write_b64 v47, v[2:3]
	s_branch .LBB2_6
.LBB2_9:
	v_readlane_b32 s0, v57, 2
	v_readlane_b32 s1, v57, 3
	s_or_b64 exec, exec, s[0:1]
	v_or_b32_e32 v0, v44, v45
	v_cmp_eq_u32_e32 vcc, 0, v0
	s_waitcnt lgkmcnt(0)
	s_barrier
	s_and_saveexec_b64 s[0:1], vcc
	s_cbranch_execz .LBB2_11
; %bb.10:
	v_mov_b32_e32 v2, 0
	ds_read_b128 v[4:7], v2
	ds_read_b128 v[8:11], v2 offset:16
	ds_read_b128 v[12:15], v2 offset:32
	;; [unrolled: 1-line block ×3, first 2 shown]
	v_accvgpr_read_b32 v1, a33              ;  Reload Reuse
	v_accvgpr_read_b32 v0, a34              ;  Reload Reuse
	v_readlane_b32 s0, v57, 0
	s_waitcnt lgkmcnt(3)
	v_add_f64 v[4:5], v[4:5], 0
	v_add_f64 v[4:5], v[6:7], v[4:5]
	s_waitcnt lgkmcnt(2)
	v_add_f64 v[4:5], v[8:9], v[4:5]
	v_add_f64 v[4:5], v[10:11], v[4:5]
	s_waitcnt lgkmcnt(1)
	v_add_f64 v[8:9], v[12:13], v[4:5]
	ds_read_b128 v[4:7], v2 offset:64
	v_add_f64 v[8:9], v[14:15], v[8:9]
	s_waitcnt lgkmcnt(1)
	v_add_f64 v[12:13], v[16:17], v[8:9]
	ds_read_b128 v[8:11], v2 offset:80
	;; [unrolled: 4-line block ×25, first 2 shown]
	v_add_f64 v[8:9], v[10:11], v[8:9]
	s_waitcnt lgkmcnt(1)
	v_add_f64 v[8:9], v[12:13], v[8:9]
	v_add_f64 v[12:13], v[14:15], v[8:9]
	ds_read_b128 v[8:11], v2 offset:464
	s_waitcnt lgkmcnt(1)
	v_add_f64 v[4:5], v[4:5], v[12:13]
	ds_read_b128 v[12:15], v2 offset:480
	v_add_f64 v[6:7], v[6:7], v[4:5]
	ds_read_b128 v[2:5], v2 offset:496
	s_waitcnt lgkmcnt(2)
	v_add_f64 v[6:7], v[8:9], v[6:7]
	v_add_f64 v[6:7], v[10:11], v[6:7]
	s_waitcnt lgkmcnt(1)
	v_add_f64 v[6:7], v[12:13], v[6:7]
	v_add_f64 v[6:7], v[14:15], v[6:7]
	v_ashrrev_i32_e32 v1, 31, v0
	v_readlane_b32 s1, v57, 1
	s_waitcnt lgkmcnt(0)
	v_add_f64 v[2:3], v[2:3], v[6:7]
	v_add_f64 v[2:3], v[4:5], v[2:3]
	v_lshl_add_u64 v[0:1], v[0:1], 3, s[0:1]
	global_store_dwordx2 v[0:1], v[2:3], off
.LBB2_11:
	s_endpgm
	.section	.rodata,"a",@progbits
	.p2align	6, 0x0
	.amdhsa_kernel _Z16cuda_mat_K_PI_dpPKdPKiiS0_PdS0_
		.amdhsa_group_segment_fixed_size 512
		.amdhsa_private_segment_fixed_size 1168
		.amdhsa_kernarg_size 304
		.amdhsa_user_sgpr_count 8
		.amdhsa_user_sgpr_dispatch_ptr 1
		.amdhsa_user_sgpr_queue_ptr 1
		.amdhsa_user_sgpr_kernarg_segment_ptr 1
		.amdhsa_user_sgpr_dispatch_id 1
		.amdhsa_user_sgpr_kernarg_preload_length 0
		.amdhsa_user_sgpr_kernarg_preload_offset 0
		.amdhsa_user_sgpr_private_segment_size 0
		.amdhsa_uses_dynamic_stack 1
		.amdhsa_enable_private_segment 1
		.amdhsa_system_sgpr_workgroup_id_x 1
		.amdhsa_system_sgpr_workgroup_id_y 1
		.amdhsa_system_sgpr_workgroup_id_z 1
		.amdhsa_system_sgpr_workgroup_info 0
		.amdhsa_system_vgpr_workitem_id 2
		.amdhsa_next_free_vgpr max(totalnumvgprs(_Z16cuda_mat_K_PI_dpPKdPKiiS0_PdS0_.num_agpr, _Z16cuda_mat_K_PI_dpPKdPKiiS0_PdS0_.num_vgpr), 1, 0)
		.amdhsa_next_free_sgpr max(_Z16cuda_mat_K_PI_dpPKdPKiiS0_PdS0_.numbered_sgpr+6, 1, 0)-6
		.amdhsa_accum_offset (((((alignto(max(1, _Z16cuda_mat_K_PI_dpPKdPKiiS0_PdS0_.num_vgpr), 4)/4)-1)&~65536)&63)+1)*4
		.amdhsa_reserve_vcc 1
		.amdhsa_float_round_mode_32 0
		.amdhsa_float_round_mode_16_64 0
		.amdhsa_float_denorm_mode_32 3
		.amdhsa_float_denorm_mode_16_64 3
		.amdhsa_dx10_clamp 1
		.amdhsa_ieee_mode 1
		.amdhsa_fp16_overflow 0
		.amdhsa_tg_split 0
		.amdhsa_exception_fp_ieee_invalid_op 0
		.amdhsa_exception_fp_denorm_src 0
		.amdhsa_exception_fp_ieee_div_zero 0
		.amdhsa_exception_fp_ieee_overflow 0
		.amdhsa_exception_fp_ieee_underflow 0
		.amdhsa_exception_fp_ieee_inexact 0
		.amdhsa_exception_int_div_zero 0
	.end_amdhsa_kernel
	.text
.Lfunc_end2:
	.size	_Z16cuda_mat_K_PI_dpPKdPKiiS0_PdS0_, .Lfunc_end2-_Z16cuda_mat_K_PI_dpPKdPKiiS0_PdS0_
                                        ; -- End function
	.set _Z16cuda_mat_K_PI_dpPKdPKiiS0_PdS0_.num_vgpr, max(60, amdgpu.max_num_vgpr)
	.set _Z16cuda_mat_K_PI_dpPKdPKiiS0_PdS0_.num_agpr, max(49, amdgpu.max_num_agpr)
	.set _Z16cuda_mat_K_PI_dpPKdPKiiS0_PdS0_.numbered_sgpr, max(102, amdgpu.max_num_sgpr)
	.set _Z16cuda_mat_K_PI_dpPKdPKiiS0_PdS0_.num_named_barrier, max(0, amdgpu.max_num_named_barrier)
	.set _Z16cuda_mat_K_PI_dpPKdPKiiS0_PdS0_.private_seg_size, 0+max(.L_Z15cuda_rys_pbf_dpPKdS0_S0_S0_.private_seg_size)
	.set _Z16cuda_mat_K_PI_dpPKdPKiiS0_PdS0_.uses_vcc, 1
	.set _Z16cuda_mat_K_PI_dpPKdPKiiS0_PdS0_.uses_flat_scratch, 1
	.set _Z16cuda_mat_K_PI_dpPKdPKiiS0_PdS0_.has_dyn_sized_stack, 1
	.set _Z16cuda_mat_K_PI_dpPKdPKiiS0_PdS0_.has_recursion, 1
	.set _Z16cuda_mat_K_PI_dpPKdPKiiS0_PdS0_.has_indirect_call, 1
	.section	.AMDGPU.csdata,"",@progbits
; Kernel info:
; codeLenInByte = 3004
; TotalNumSgprs: _Z16cuda_mat_K_PI_dpPKdPKiiS0_PdS0_.numbered_sgpr+6
; NumVgprs: _Z16cuda_mat_K_PI_dpPKdPKiiS0_PdS0_.num_vgpr
; NumAgprs: _Z16cuda_mat_K_PI_dpPKdPKiiS0_PdS0_.num_agpr
; TotalNumVgprs: totalnumvgprs(_Z16cuda_mat_K_PI_dpPKdPKiiS0_PdS0_.num_agpr, _Z16cuda_mat_K_PI_dpPKdPKiiS0_PdS0_.num_vgpr)
; ScratchSize: 1168
; MemoryBound: 0
; FloatMode: 240
; IeeeMode: 1
; LDSByteSize: 512 bytes/workgroup (compile time only)
; SGPRBlocks: (alignto(max(max(_Z16cuda_mat_K_PI_dpPKdPKiiS0_PdS0_.numbered_sgpr+extrasgprs(_Z16cuda_mat_K_PI_dpPKdPKiiS0_PdS0_.uses_vcc, _Z16cuda_mat_K_PI_dpPKdPKiiS0_PdS0_.uses_flat_scratch, 1), 1, 0), 1), 8)/8)-1
; VGPRBlocks: (alignto(max(max(totalnumvgprs(_Z16cuda_mat_K_PI_dpPKdPKiiS0_PdS0_.num_agpr, _Z16cuda_mat_K_PI_dpPKdPKiiS0_PdS0_.num_vgpr), 1, 0), 1), 8)/8)-1
; NumSGPRsForWavesPerEU: max(_Z16cuda_mat_K_PI_dpPKdPKiiS0_PdS0_.numbered_sgpr+6, 1, 0)
; NumVGPRsForWavesPerEU: max(totalnumvgprs(_Z16cuda_mat_K_PI_dpPKdPKiiS0_PdS0_.num_agpr, _Z16cuda_mat_K_PI_dpPKdPKiiS0_PdS0_.num_vgpr), 1, 0)
; AccumOffset: ((alignto(max(1, _Z16cuda_mat_K_PI_dpPKdPKiiS0_PdS0_.num_vgpr), 4)/4)-1+1)*4
; Occupancy: occupancy(8, 8, 512, 8, 8, max(_Z16cuda_mat_K_PI_dpPKdPKiiS0_PdS0_.numbered_sgpr+extrasgprs(_Z16cuda_mat_K_PI_dpPKdPKiiS0_PdS0_.uses_vcc, _Z16cuda_mat_K_PI_dpPKdPKiiS0_PdS0_.uses_flat_scratch, 1), 1, 0), max(totalnumvgprs(_Z16cuda_mat_K_PI_dpPKdPKiiS0_PdS0_.num_agpr, _Z16cuda_mat_K_PI_dpPKdPKiiS0_PdS0_.num_vgpr), 1, 0))
; WaveLimiterHint : 1
; COMPUTE_PGM_RSRC2:SCRATCH_EN: 1
; COMPUTE_PGM_RSRC2:USER_SGPR: 8
; COMPUTE_PGM_RSRC2:TRAP_HANDLER: 0
; COMPUTE_PGM_RSRC2:TGID_X_EN: 1
; COMPUTE_PGM_RSRC2:TGID_Y_EN: 1
; COMPUTE_PGM_RSRC2:TGID_Z_EN: 1
; COMPUTE_PGM_RSRC2:TIDIG_COMP_CNT: 2
; COMPUTE_PGM_RSRC3_GFX90A:ACCUM_OFFSET: (((alignto(max(1, _Z16cuda_mat_K_PI_dpPKdPKiiS0_PdS0_.num_vgpr), 4)/4)-1)&~65536)&63
; COMPUTE_PGM_RSRC3_GFX90A:TG_SPLIT: 0
	.text
	.p2alignl 6, 3212836864
	.fill 256, 4, 3212836864
	.section	.AMDGPU.gpr_maximums,"",@progbits
	.set amdgpu.max_num_vgpr, 64
	.set amdgpu.max_num_agpr, 64
	.set amdgpu.max_num_sgpr, 100
	.text
	.type	__hip_cuid_7faa83c075be4bc4,@object ; @__hip_cuid_7faa83c075be4bc4
	.section	.bss,"aw",@nobits
	.globl	__hip_cuid_7faa83c075be4bc4
__hip_cuid_7faa83c075be4bc4:
	.byte	0                               ; 0x0
	.size	__hip_cuid_7faa83c075be4bc4, 1

	.hidden	_Z13cuda_binomialii
	.hidden	_Z16cuda_ij2intindexii
	.ident	"AMD clang version 22.0.0git (https://github.com/RadeonOpenCompute/llvm-project roc-7.2.4 26084 f58b06dce1f9c15707c5f808fd002e18c2accf7e)"
	.section	".note.GNU-stack","",@progbits
	.addrsig
	.addrsig_sym __hip_cuid_7faa83c075be4bc4
	.amdgpu_metadata
---
amdhsa.kernels:
  - .agpr_count:     64
    .args:
      - .actual_access:  read_only
        .address_space:  global
        .offset:         0
        .size:           8
        .value_kind:     global_buffer
      - .actual_access:  read_only
        .address_space:  global
        .offset:         8
        .size:           8
        .value_kind:     global_buffer
      - .offset:         16
        .size:           4
        .value_kind:     by_value
      - .actual_access:  read_only
        .address_space:  global
        .offset:         24
        .size:           8
        .value_kind:     global_buffer
      - .actual_access:  write_only
        .address_space:  global
        .offset:         32
        .size:           8
        .value_kind:     global_buffer
      - .actual_access:  read_only
        .address_space:  global
        .offset:         40
        .size:           8
        .value_kind:     global_buffer
      - .offset:         48
        .size:           4
        .value_kind:     hidden_block_count_x
      - .offset:         52
        .size:           4
        .value_kind:     hidden_block_count_y
      - .offset:         56
        .size:           4
        .value_kind:     hidden_block_count_z
      - .offset:         60
        .size:           2
        .value_kind:     hidden_group_size_x
      - .offset:         62
        .size:           2
        .value_kind:     hidden_group_size_y
      - .offset:         64
        .size:           2
        .value_kind:     hidden_group_size_z
      - .offset:         66
        .size:           2
        .value_kind:     hidden_remainder_x
      - .offset:         68
        .size:           2
        .value_kind:     hidden_remainder_y
      - .offset:         70
        .size:           2
        .value_kind:     hidden_remainder_z
      - .offset:         88
        .size:           8
        .value_kind:     hidden_global_offset_x
      - .offset:         96
        .size:           8
        .value_kind:     hidden_global_offset_y
      - .offset:         104
        .size:           8
        .value_kind:     hidden_global_offset_z
      - .offset:         112
        .size:           2
        .value_kind:     hidden_grid_dims
      - .offset:         128
        .size:           8
        .value_kind:     hidden_hostcall_buffer
      - .offset:         136
        .size:           8
        .value_kind:     hidden_multigrid_sync_arg
      - .offset:         144
        .size:           8
        .value_kind:     hidden_heap_v1
      - .offset:         152
        .size:           8
        .value_kind:     hidden_default_queue
      - .offset:         160
        .size:           8
        .value_kind:     hidden_completion_action
      - .offset:         248
        .size:           8
        .value_kind:     hidden_queue_ptr
    .group_segment_fixed_size: 512
    .kernarg_segment_align: 8
    .kernarg_segment_size: 304
    .language:       OpenCL C
    .language_version:
      - 2
      - 0
    .max_flat_workgroup_size: 1024
    .name:           _Z16cuda_mat_J_PI_dpPKdPKiiS0_PdS0_
    .private_segment_fixed_size: 1168
    .sgpr_count:     108
    .sgpr_spill_count: 38
    .symbol:         _Z16cuda_mat_J_PI_dpPKdPKiiS0_PdS0_.kd
    .uniform_work_group_size: 1
    .uses_dynamic_stack: true
    .vgpr_count:     128
    .vgpr_spill_count: 16
    .wavefront_size: 64
  - .agpr_count:     64
    .args:
      - .actual_access:  read_only
        .address_space:  global
        .offset:         0
        .size:           8
        .value_kind:     global_buffer
      - .actual_access:  read_only
        .address_space:  global
        .offset:         8
        .size:           8
        .value_kind:     global_buffer
      - .offset:         16
        .size:           4
        .value_kind:     by_value
      - .actual_access:  read_only
        .address_space:  global
        .offset:         24
        .size:           8
        .value_kind:     global_buffer
      - .actual_access:  write_only
        .address_space:  global
        .offset:         32
        .size:           8
        .value_kind:     global_buffer
      - .actual_access:  read_only
        .address_space:  global
        .offset:         40
        .size:           8
        .value_kind:     global_buffer
      - .offset:         48
        .size:           4
        .value_kind:     hidden_block_count_x
      - .offset:         52
        .size:           4
        .value_kind:     hidden_block_count_y
      - .offset:         56
        .size:           4
        .value_kind:     hidden_block_count_z
      - .offset:         60
        .size:           2
        .value_kind:     hidden_group_size_x
      - .offset:         62
        .size:           2
        .value_kind:     hidden_group_size_y
      - .offset:         64
        .size:           2
        .value_kind:     hidden_group_size_z
      - .offset:         66
        .size:           2
        .value_kind:     hidden_remainder_x
      - .offset:         68
        .size:           2
        .value_kind:     hidden_remainder_y
      - .offset:         70
        .size:           2
        .value_kind:     hidden_remainder_z
      - .offset:         88
        .size:           8
        .value_kind:     hidden_global_offset_x
      - .offset:         96
        .size:           8
        .value_kind:     hidden_global_offset_y
      - .offset:         104
        .size:           8
        .value_kind:     hidden_global_offset_z
      - .offset:         112
        .size:           2
        .value_kind:     hidden_grid_dims
      - .offset:         128
        .size:           8
        .value_kind:     hidden_hostcall_buffer
      - .offset:         136
        .size:           8
        .value_kind:     hidden_multigrid_sync_arg
      - .offset:         144
        .size:           8
        .value_kind:     hidden_heap_v1
      - .offset:         152
        .size:           8
        .value_kind:     hidden_default_queue
      - .offset:         160
        .size:           8
        .value_kind:     hidden_completion_action
      - .offset:         248
        .size:           8
        .value_kind:     hidden_queue_ptr
    .group_segment_fixed_size: 512
    .kernarg_segment_align: 8
    .kernarg_segment_size: 304
    .language:       OpenCL C
    .language_version:
      - 2
      - 0
    .max_flat_workgroup_size: 1024
    .name:           _Z16cuda_mat_K_PI_dpPKdPKiiS0_PdS0_
    .private_segment_fixed_size: 1168
    .sgpr_count:     108
    .sgpr_spill_count: 42
    .symbol:         _Z16cuda_mat_K_PI_dpPKdPKiiS0_PdS0_.kd
    .uniform_work_group_size: 1
    .uses_dynamic_stack: true
    .vgpr_count:     128
    .vgpr_spill_count: 16
    .wavefront_size: 64
amdhsa.target:   amdgcn-amd-amdhsa--gfx950
amdhsa.version:
  - 1
  - 2
...

	.end_amdgpu_metadata
